;; amdgpu-corpus repo=ROCm/rocFFT kind=compiled arch=gfx950 opt=O3
	.text
	.amdgcn_target "amdgcn-amd-amdhsa--gfx950"
	.amdhsa_code_object_version 6
	.protected	fft_rtc_back_len1666_factors_17_2_7_7_wgs_119_tpt_119_halfLds_half_ip_CI_unitstride_sbrr_dirReg ; -- Begin function fft_rtc_back_len1666_factors_17_2_7_7_wgs_119_tpt_119_halfLds_half_ip_CI_unitstride_sbrr_dirReg
	.globl	fft_rtc_back_len1666_factors_17_2_7_7_wgs_119_tpt_119_halfLds_half_ip_CI_unitstride_sbrr_dirReg
	.p2align	8
	.type	fft_rtc_back_len1666_factors_17_2_7_7_wgs_119_tpt_119_halfLds_half_ip_CI_unitstride_sbrr_dirReg,@function
fft_rtc_back_len1666_factors_17_2_7_7_wgs_119_tpt_119_halfLds_half_ip_CI_unitstride_sbrr_dirReg: ; @fft_rtc_back_len1666_factors_17_2_7_7_wgs_119_tpt_119_halfLds_half_ip_CI_unitstride_sbrr_dirReg
; %bb.0:
	s_load_dwordx2 s[8:9], s[0:1], 0x50
	s_load_dwordx4 s[4:7], s[0:1], 0x0
	s_load_dwordx2 s[10:11], s[0:1], 0x18
	v_mul_u32_u24_e32 v1, 0x227, v0
	v_add_u32_sdwa v6, s2, v1 dst_sel:DWORD dst_unused:UNUSED_PAD src0_sel:DWORD src1_sel:WORD_1
	v_mov_b32_e32 v4, 0
	s_waitcnt lgkmcnt(0)
	v_cmp_lt_u64_e64 s[2:3], s[6:7], 2
	v_mov_b32_e32 v7, v4
	s_and_b64 vcc, exec, s[2:3]
	v_mov_b64_e32 v[2:3], 0
	s_cbranch_vccnz .LBB0_8
; %bb.1:
	s_load_dwordx2 s[2:3], s[0:1], 0x10
	s_add_u32 s12, s10, 8
	s_addc_u32 s13, s11, 0
	s_mov_b64 s[14:15], 1
	v_mov_b64_e32 v[2:3], 0
	s_waitcnt lgkmcnt(0)
	s_add_u32 s16, s2, 8
	s_addc_u32 s17, s3, 0
.LBB0_2:                                ; =>This Inner Loop Header: Depth=1
	s_load_dwordx2 s[18:19], s[16:17], 0x0
                                        ; implicit-def: $vgpr8_vgpr9
	s_waitcnt lgkmcnt(0)
	v_or_b32_e32 v5, s19, v7
	v_cmp_ne_u64_e32 vcc, 0, v[4:5]
	s_and_saveexec_b64 s[2:3], vcc
	s_xor_b64 s[20:21], exec, s[2:3]
	s_cbranch_execz .LBB0_4
; %bb.3:                                ;   in Loop: Header=BB0_2 Depth=1
	v_cvt_f32_u32_e32 v1, s18
	v_cvt_f32_u32_e32 v5, s19
	s_sub_u32 s2, 0, s18
	s_subb_u32 s3, 0, s19
	v_fmac_f32_e32 v1, 0x4f800000, v5
	v_rcp_f32_e32 v1, v1
	s_nop 0
	v_mul_f32_e32 v1, 0x5f7ffffc, v1
	v_mul_f32_e32 v5, 0x2f800000, v1
	v_trunc_f32_e32 v5, v5
	v_fmac_f32_e32 v1, 0xcf800000, v5
	v_cvt_u32_f32_e32 v5, v5
	v_cvt_u32_f32_e32 v1, v1
	v_mul_lo_u32 v8, s2, v5
	v_mul_hi_u32 v10, s2, v1
	v_mul_lo_u32 v9, s3, v1
	v_add_u32_e32 v10, v10, v8
	v_mul_lo_u32 v12, s2, v1
	v_add_u32_e32 v13, v10, v9
	v_mul_hi_u32 v8, v1, v12
	v_mul_hi_u32 v11, v1, v13
	v_mul_lo_u32 v10, v1, v13
	v_mov_b32_e32 v9, v4
	v_lshl_add_u64 v[8:9], v[8:9], 0, v[10:11]
	v_mul_hi_u32 v11, v5, v12
	v_mul_lo_u32 v12, v5, v12
	v_add_co_u32_e32 v8, vcc, v8, v12
	v_mul_hi_u32 v10, v5, v13
	s_nop 0
	v_addc_co_u32_e32 v8, vcc, v9, v11, vcc
	v_mov_b32_e32 v9, v4
	s_nop 0
	v_addc_co_u32_e32 v11, vcc, 0, v10, vcc
	v_mul_lo_u32 v10, v5, v13
	v_lshl_add_u64 v[8:9], v[8:9], 0, v[10:11]
	v_add_co_u32_e32 v1, vcc, v1, v8
	v_mul_lo_u32 v10, s2, v1
	s_nop 0
	v_addc_co_u32_e32 v5, vcc, v5, v9, vcc
	v_mul_lo_u32 v8, s2, v5
	v_mul_hi_u32 v9, s2, v1
	v_add_u32_e32 v8, v9, v8
	v_mul_lo_u32 v9, s3, v1
	v_add_u32_e32 v12, v8, v9
	v_mul_hi_u32 v14, v5, v10
	v_mul_lo_u32 v15, v5, v10
	v_mul_hi_u32 v9, v1, v12
	v_mul_lo_u32 v8, v1, v12
	v_mul_hi_u32 v10, v1, v10
	v_mov_b32_e32 v11, v4
	v_lshl_add_u64 v[8:9], v[10:11], 0, v[8:9]
	v_add_co_u32_e32 v8, vcc, v8, v15
	v_mul_hi_u32 v13, v5, v12
	s_nop 0
	v_addc_co_u32_e32 v8, vcc, v9, v14, vcc
	v_mul_lo_u32 v10, v5, v12
	s_nop 0
	v_addc_co_u32_e32 v11, vcc, 0, v13, vcc
	v_mov_b32_e32 v9, v4
	v_lshl_add_u64 v[8:9], v[8:9], 0, v[10:11]
	v_add_co_u32_e32 v1, vcc, v1, v8
	v_mul_hi_u32 v10, v6, v1
	s_nop 0
	v_addc_co_u32_e32 v5, vcc, v5, v9, vcc
	v_mad_u64_u32 v[8:9], s[2:3], v6, v5, 0
	v_mov_b32_e32 v11, v4
	v_lshl_add_u64 v[8:9], v[10:11], 0, v[8:9]
	v_mad_u64_u32 v[12:13], s[2:3], v7, v1, 0
	v_add_co_u32_e32 v1, vcc, v8, v12
	v_mad_u64_u32 v[10:11], s[2:3], v7, v5, 0
	s_nop 0
	v_addc_co_u32_e32 v8, vcc, v9, v13, vcc
	v_mov_b32_e32 v9, v4
	s_nop 0
	v_addc_co_u32_e32 v11, vcc, 0, v11, vcc
	v_lshl_add_u64 v[8:9], v[8:9], 0, v[10:11]
	v_mul_lo_u32 v1, s19, v8
	v_mul_lo_u32 v5, s18, v9
	v_mad_u64_u32 v[10:11], s[2:3], s18, v8, 0
	v_add3_u32 v1, v11, v5, v1
	v_sub_u32_e32 v5, v7, v1
	v_mov_b32_e32 v11, s19
	v_sub_co_u32_e32 v14, vcc, v6, v10
	v_lshl_add_u64 v[12:13], v[8:9], 0, 1
	s_nop 0
	v_subb_co_u32_e64 v5, s[2:3], v5, v11, vcc
	v_subrev_co_u32_e64 v10, s[2:3], s18, v14
	v_subb_co_u32_e32 v1, vcc, v7, v1, vcc
	s_nop 0
	v_subbrev_co_u32_e64 v5, s[2:3], 0, v5, s[2:3]
	v_cmp_le_u32_e64 s[2:3], s19, v5
	v_cmp_le_u32_e32 vcc, s19, v1
	s_nop 0
	v_cndmask_b32_e64 v11, 0, -1, s[2:3]
	v_cmp_le_u32_e64 s[2:3], s18, v10
	s_nop 1
	v_cndmask_b32_e64 v10, 0, -1, s[2:3]
	v_cmp_eq_u32_e64 s[2:3], s19, v5
	s_nop 1
	v_cndmask_b32_e64 v5, v11, v10, s[2:3]
	v_lshl_add_u64 v[10:11], v[8:9], 0, 2
	v_cmp_ne_u32_e64 s[2:3], 0, v5
	s_nop 1
	v_cndmask_b32_e64 v5, v13, v11, s[2:3]
	v_cndmask_b32_e64 v11, 0, -1, vcc
	v_cmp_le_u32_e32 vcc, s18, v14
	s_nop 1
	v_cndmask_b32_e64 v13, 0, -1, vcc
	v_cmp_eq_u32_e32 vcc, s19, v1
	s_nop 1
	v_cndmask_b32_e32 v1, v11, v13, vcc
	v_cmp_ne_u32_e32 vcc, 0, v1
	v_cndmask_b32_e64 v1, v12, v10, s[2:3]
	s_nop 0
	v_cndmask_b32_e32 v9, v9, v5, vcc
	v_cndmask_b32_e32 v8, v8, v1, vcc
.LBB0_4:                                ;   in Loop: Header=BB0_2 Depth=1
	s_andn2_saveexec_b64 s[2:3], s[20:21]
	s_cbranch_execz .LBB0_6
; %bb.5:                                ;   in Loop: Header=BB0_2 Depth=1
	v_cvt_f32_u32_e32 v1, s18
	s_sub_i32 s20, 0, s18
	v_rcp_iflag_f32_e32 v1, v1
	s_nop 0
	v_mul_f32_e32 v1, 0x4f7ffffe, v1
	v_cvt_u32_f32_e32 v1, v1
	v_mul_lo_u32 v5, s20, v1
	v_mul_hi_u32 v5, v1, v5
	v_add_u32_e32 v1, v1, v5
	v_mul_hi_u32 v1, v6, v1
	v_mul_lo_u32 v5, v1, s18
	v_sub_u32_e32 v5, v6, v5
	v_add_u32_e32 v8, 1, v1
	v_subrev_u32_e32 v9, s18, v5
	v_cmp_le_u32_e32 vcc, s18, v5
	s_nop 1
	v_cndmask_b32_e32 v5, v5, v9, vcc
	v_cndmask_b32_e32 v1, v1, v8, vcc
	v_add_u32_e32 v8, 1, v1
	v_cmp_le_u32_e32 vcc, s18, v5
	v_mov_b32_e32 v9, v4
	s_nop 0
	v_cndmask_b32_e32 v8, v1, v8, vcc
.LBB0_6:                                ;   in Loop: Header=BB0_2 Depth=1
	s_or_b64 exec, exec, s[2:3]
	v_mad_u64_u32 v[10:11], s[2:3], v8, s18, 0
	s_load_dwordx2 s[2:3], s[12:13], 0x0
	v_mul_lo_u32 v1, v9, s18
	v_mul_lo_u32 v5, v8, s19
	v_add3_u32 v1, v11, v5, v1
	v_sub_co_u32_e32 v5, vcc, v6, v10
	s_add_u32 s14, s14, 1
	s_nop 0
	v_subb_co_u32_e32 v1, vcc, v7, v1, vcc
	s_addc_u32 s15, s15, 0
	s_waitcnt lgkmcnt(0)
	v_mul_lo_u32 v1, s2, v1
	v_mul_lo_u32 v6, s3, v5
	v_mad_u64_u32 v[2:3], s[2:3], s2, v5, v[2:3]
	s_add_u32 s12, s12, 8
	v_add3_u32 v3, v6, v3, v1
	s_addc_u32 s13, s13, 0
	v_mov_b64_e32 v[6:7], s[6:7]
	s_add_u32 s16, s16, 8
	v_cmp_ge_u64_e32 vcc, s[14:15], v[6:7]
	s_addc_u32 s17, s17, 0
	s_cbranch_vccnz .LBB0_9
; %bb.7:                                ;   in Loop: Header=BB0_2 Depth=1
	v_mov_b64_e32 v[6:7], v[8:9]
	s_branch .LBB0_2
.LBB0_8:
	v_mov_b64_e32 v[8:9], v[6:7]
.LBB0_9:
	s_lshl_b64 s[2:3], s[6:7], 3
	s_add_u32 s2, s10, s2
	s_addc_u32 s3, s11, s3
	s_load_dwordx2 s[6:7], s[2:3], 0x0
	s_load_dwordx2 s[10:11], s[0:1], 0x20
	v_mov_b32_e32 v6, 0
                                        ; implicit-def: $vgpr32
                                        ; implicit-def: $vgpr16
                                        ; implicit-def: $vgpr30
                                        ; implicit-def: $vgpr14
                                        ; implicit-def: $vgpr28
                                        ; implicit-def: $vgpr13
                                        ; implicit-def: $vgpr27
                                        ; implicit-def: $vgpr12
                                        ; implicit-def: $vgpr24
                                        ; implicit-def: $vgpr22
                                        ; implicit-def: $vgpr20
                                        ; implicit-def: $vgpr7
                                        ; implicit-def: $vgpr18
                                        ; implicit-def: $vgpr10
                                        ; implicit-def: $vgpr19
                                        ; implicit-def: $vgpr11
                                        ; implicit-def: $vgpr23
                                        ; implicit-def: $vgpr15
                                        ; implicit-def: $vgpr25
                                        ; implicit-def: $vgpr17
                                        ; implicit-def: $vgpr29
                                        ; implicit-def: $vgpr21
                                        ; implicit-def: $vgpr33
                                        ; implicit-def: $vgpr26
                                        ; implicit-def: $vgpr38
                                        ; implicit-def: $vgpr36
                                        ; implicit-def: $vgpr37
                                        ; implicit-def: $vgpr34
                                        ; implicit-def: $vgpr35
                                        ; implicit-def: $vgpr31
	s_waitcnt lgkmcnt(0)
	v_mad_u64_u32 v[2:3], s[0:1], s6, v8, v[2:3]
	v_mul_lo_u32 v1, s6, v9
	v_mul_lo_u32 v4, s7, v8
	s_mov_b32 s0, 0x226b903
	v_add3_u32 v3, v4, v3, v1
	v_mul_hi_u32 v1, v0, s0
	v_mul_u32_u24_e32 v1, 0x77, v1
	v_sub_u32_e32 v0, v0, v1
	s_movk_i32 s0, 0x62
	v_cmp_gt_u64_e32 vcc, s[10:11], v[8:9]
	v_cmp_gt_u32_e64 s[0:1], s0, v0
	s_and_b64 s[2:3], vcc, s[0:1]
	v_lshl_add_u64 v[2:3], v[2:3], 2, s[8:9]
	v_mov_b32_e32 v1, 0
                                        ; implicit-def: $vgpr9
                                        ; implicit-def: $vgpr8
	s_and_saveexec_b64 s[6:7], s[2:3]
	s_cbranch_execz .LBB0_11
; %bb.10:
	v_mov_b32_e32 v1, 0
	v_lshl_add_u64 v[4:5], v[0:1], 2, v[2:3]
	s_movk_i32 s2, 0x1000
	v_add_co_u32_e64 v18, s[2:3], s2, v4
	global_load_dword v1, v[4:5], off
	global_load_dword v16, v[4:5], off offset:392
	global_load_dword v14, v[4:5], off offset:784
	;; [unrolled: 1-line block ×7, first 2 shown]
	v_addc_co_u32_e64 v19, s[2:3], 0, v5, s[2:3]
	global_load_dword v10, v[4:5], off offset:3136
	global_load_dword v11, v[4:5], off offset:3528
	;; [unrolled: 1-line block ×9, first 2 shown]
	s_waitcnt vmcnt(16)
	v_lshrrev_b32_e32 v6, 16, v1
	s_waitcnt vmcnt(15)
	v_lshrrev_b32_e32 v32, 16, v16
	;; [unrolled: 2-line block ×17, first 2 shown]
.LBB0_11:
	s_or_b64 exec, exec, s[6:7]
	s_and_saveexec_b64 s[2:3], s[0:1]
	s_cbranch_execz .LBB0_13
; %bb.12:
	v_add_f16_e32 v4, v16, v36
	v_sub_f16_e32 v45, v32, v38
	v_add_f16_e32 v5, v14, v34
	s_mov_b32 s10, 0xbbb2
	v_mul_f16_e32 v53, 0xb461, v4
	v_sub_f16_e32 v46, v30, v37
	v_add_f16_e32 v39, v13, v31
	v_mul_f16_e32 v58, 0xbacd, v5
	s_movk_i32 s11, 0x3836
	v_fma_f16 v54, v45, s10, v53
	v_sub_f16_e32 v47, v28, v35
	v_add_f16_e32 v40, v12, v26
	s_movk_i32 s6, 0x3964
	v_mul_f16_e32 v59, 0x39e9, v39
	v_add_f16_e32 v54, v1, v54
	v_fma_f16 v55, v46, s11, v58
	v_sub_f16_e32 v48, v27, v33
	v_add_f16_e32 v41, v9, v21
	v_mul_f16_e32 v60, 0x3722, v40
	s_mov_b32 s12, 0xbb29
	v_add_f16_e32 v54, v54, v55
	v_fma_f16 v55, v47, s6, v59
	s_mov_b32 s7, 0xb1e1
	v_sub_f16_e32 v49, v24, v29
	v_add_f16_e32 v42, v8, v17
	v_mul_f16_e32 v61, 0xbbdd, v41
	v_add_f16_e32 v54, v54, v55
	v_fma_f16 v55, v48, s12, v60
	v_sub_f16_e32 v50, v22, v25
	v_add_f16_e32 v43, v7, v15
	s_movk_i32 s8, 0x3bf7
	v_mul_f16_e32 v62, 0x2de8, v42
	v_add_f16_e32 v54, v55, v54
	v_fma_f16 v55, v49, s7, v61
	v_sub_f16_e32 v51, v20, v23
	v_add_f16_e32 v44, v10, v11
	v_mul_f16_e32 v63, 0x3b76, v43
	s_mov_b32 s13, 0xb5c8
	v_add_f16_e32 v54, v55, v54
	v_fma_f16 v55, v50, s8, v62
	s_mov_b32 s9, 0xba62
	v_sub_f16_e32 v52, v18, v19
	v_add_f16_e32 v54, v55, v54
	v_fma_f16 v55, v51, s13, v63
	v_mul_f16_e32 v64, 0xb8d2, v44
	s_mov_b32 s12, 0x39e93b76
	v_add_f16_e32 v54, v55, v54
	v_fma_f16 v55, v52, s9, v64
	s_mov_b32 s13, 0xb964b5c8
	s_mov_b32 s14, 0x2de839e9
	v_pk_mul_f16 v65, v4, s12 op_sel_hi:[0,1]
	v_add_f16_e32 v54, v55, v54
	s_mov_b32 s15, 0xbbf7b964
	v_pk_fma_f16 v55, v45, s13, v65 op_sel_hi:[0,1,1]
	v_pk_mul_f16 v66, v5, s14 op_sel_hi:[0,1]
	s_mov_b32 s12, 0xb8d23722
	v_pk_add_f16 v55, v1, v55 op_sel_hi:[0,1]
	v_pk_fma_f16 v56, v46, s15, v66 op_sel_hi:[0,1,1]
	s_mov_b32 s13, 0xba62bb29
	v_pk_mul_f16 v67, v39, s12 op_sel_hi:[0,1]
	s_mov_b32 s12, 0xbbdd2de8
	v_pk_add_f16 v55, v55, v56
	v_pk_fma_f16 v56, v47, s13, v67 op_sel_hi:[0,1,1]
	s_mov_b32 s13, 0xb1e1bbf7
	v_pk_mul_f16 v68, v40, s12 op_sel_hi:[0,1]
	s_mov_b32 s12, 0xbacdb461
	v_pk_add_f16 v55, v55, v56
	;; [unrolled: 5-line block ×6, first 2 shown]
	v_pk_fma_f16 v56, v52, s13, v72 op_sel_hi:[0,1,1]
	s_mov_b32 s13, 0xbbf7bb29
	s_mov_b32 s15, 0xbbddb8d2
	v_pk_mul_f16 v74, v4, s14 op_sel_hi:[0,1]
	v_pk_add_f16 v73, v56, v55
	s_mov_b32 s12, 0xb1e1ba62
	v_pk_fma_f16 v55, v45, s13, v74 op_sel_hi:[0,1,1]
	v_pk_mul_f16 v75, v5, s15 op_sel_hi:[0,1]
	s_mov_b32 s14, 0xb461bbdd
	v_pk_add_f16 v55, v1, v55 op_sel_hi:[0,1]
	v_pk_fma_f16 v56, v46, s12, v75 op_sel_hi:[0,1,1]
	s_mov_b32 s19, 0x3bb231e1
	v_pk_mul_f16 v76, v39, s14 op_sel_hi:[0,1]
	s_mov_b32 s14, 0x3b76b461
	v_pk_add_f16 v55, v55, v56
	v_pk_fma_f16 v56, v47, s19, v76 op_sel_hi:[0,1,1]
	s_mov_b32 s18, 0x35c83bb2
	v_pk_mul_f16 v77, v40, s14 op_sel_hi:[0,1]
	s_mov_b32 s14, 0x372239e9
	v_pk_add_f16 v55, v55, v56
	;; [unrolled: 5-line block ×6, first 2 shown]
	v_pk_fma_f16 v56, v52, s14, v81 op_sel_hi:[0,1,1]
	s_mov_b32 s21, 0xb836ba62
	s_mov_b32 s22, 0x3722b461
	v_pk_mul_f16 v82, v4, s20 op_sel_hi:[0,1]
	v_pk_add_f16 v55, v56, v55
	s_mov_b32 s23, 0x3b293bb2
	v_pk_fma_f16 v56, v45, s21, v82 op_sel_hi:[0,1,1]
	v_pk_mul_f16 v83, v5, s22 op_sel_hi:[0,1]
	s_mov_b32 s20, 0x2de83b76
	v_pk_add_f16 v56, v1, v56 op_sel_hi:[0,1]
	v_pk_fma_f16 v57, v46, s23, v83 op_sel_hi:[0,1,1]
	s_mov_b32 s22, 0xbbf7b5c8
	v_pk_mul_f16 v84, v39, s20 op_sel_hi:[0,1]
	s_mov_b32 s20, 0xb8d2bacd
	v_pk_add_f16 v56, v56, v57
	v_pk_fma_f16 v57, v47, s22, v84 op_sel_hi:[0,1,1]
	s_mov_b32 s24, 0x3a62b836
	v_pk_mul_f16 v85, v40, s20 op_sel_hi:[0,1]
	s_mov_b32 s20, 0x3b762de8
	v_pk_add_f16 v56, v56, v57
	v_pk_fma_f16 v57, v48, s24, v85 op_sel_hi:[0,1,1]
	s_mov_b32 s25, 0xb5c83bf7
	v_pk_mul_f16 v86, v41, s20 op_sel_hi:[0,1]
	s_mov_b32 s20, 0xbbdd39e9
	v_pk_add_f16 v56, v57, v56
	v_pk_fma_f16 v57, v49, s25, v86 op_sel_hi:[0,1,1]
	s_mov_b32 s26, 0xb1e1b964
	v_pk_mul_f16 v87, v42, s20 op_sel_hi:[0,1]
	s_mov_b32 s20, 0x39e9bbdd
	v_pk_add_f16 v56, v57, v56
	v_pk_fma_f16 v57, v50, s26, v87 op_sel_hi:[0,1,1]
	s_mov_b32 s27, 0x3964b1e1
	v_pk_mul_f16 v88, v43, s20 op_sel_hi:[0,1]
	s_mov_b32 s20, 0xb4613722
	v_pk_add_f16 v56, v57, v56
	v_pk_fma_f16 v57, v51, s27, v88 op_sel_hi:[0,1,1]
	s_mov_b32 s28, 0xbbb23b29
	v_pk_mul_f16 v89, v44, s20 op_sel_hi:[0,1]
	v_pk_add_f16 v56, v57, v56
	v_pk_fma_f16 v57, v52, s28, v89 op_sel_hi:[0,1,1]
	v_pk_add_f16 v57, v57, v56
	v_alignbit_b32 v56, v54, v55, 16
	v_add_f16_e32 v54, v1, v16
	v_add_f16_e32 v54, v54, v14
	;; [unrolled: 1-line block ×16, first 2 shown]
	v_alignbit_b32 v55, v55, v73, 16
	v_pack_b32_f16 v54, v54, v73
	v_mad_u32_u24 v73, v0, 34, 0
	ds_write_b128 v73, v[54:57]
	v_mul_f16_e32 v54, 0xbbdd, v4
	s_movk_i32 s20, 0x35c8
	v_fma_f16 v55, v45, s7, v54
	v_mul_f16_e32 v56, 0x3b76, v5
	v_add_f16_e32 v55, v1, v55
	v_fma_f16 v57, v46, s20, v56
	v_add_f16_e32 v55, v55, v57
	s_mov_b32 s7, 0xb836
	v_mul_f16_e32 v57, 0xbacd, v39
	v_fma_f16 v90, v47, s7, v57
	v_add_f16_e32 v55, v55, v90
	v_mul_f16_e32 v90, 0x39e9, v40
	v_fma_f16 v91, v48, s6, v90
	v_add_f16_e32 v55, v91, v55
	;; [unrolled: 3-line block ×3, first 2 shown]
	s_movk_i32 s7, 0x3b29
	v_mul_f16_e32 v92, 0x3722, v42
	v_fma_f16 v93, v50, s7, v92
	v_add_f16_e32 v55, v93, v55
	v_mul_f16_e32 v93, 0xb461, v43
	v_fma_f16 v94, v51, s10, v93
	v_add_f16_e32 v55, v94, v55
	;; [unrolled: 3-line block ×3, first 2 shown]
	v_fma_f16 v55, v45, s20, v65
	v_add_f16_e32 v55, v1, v55
	v_fma_f16 v65, v46, s6, v66
	v_add_f16_e32 v55, v55, v65
	;; [unrolled: 2-line block ×3, first 2 shown]
	v_fma_f16 v65, v48, s8, v68
	s_movk_i32 s6, 0x3bb2
	v_add_f16_e32 v55, v65, v55
	v_fma_f16 v65, v49, s6, v69
	s_movk_i32 s6, 0x3a62
	v_add_f16_e32 v55, v65, v55
	v_fma_f16 v65, v50, s6, v70
	v_add_f16_e32 v55, v65, v55
	v_fma_f16 v65, v51, s11, v71
	s_movk_i32 s6, 0x31e1
	v_add_f16_e32 v55, v65, v55
	v_fma_f16 v65, v52, s6, v72
	v_add_f16_e32 v65, v65, v55
	v_pk_mul_f16 v55, v45, s21 op_sel_hi:[0,1]
	s_mov_b32 s6, 0xffff
	v_sub_f16_e32 v66, v82, v55
	v_bfi_b32 v54, s6, v54, v82
	v_mul_f16_e32 v82, 0xb1e1, v45
	v_bfi_b32 v55, s6, v82, v55
	v_pk_mul_f16 v67, v46, s23 op_sel_hi:[0,1]
	v_pk_add_f16 v54, v54, v55 neg_lo:[0,1] neg_hi:[0,1]
	v_bfi_b32 v55, s6, v56, v83
	v_mul_f16_e32 v56, 0x35c8, v46
	v_add_f16_e32 v66, v1, v66
	v_sub_f16_e32 v68, v83, v67
	v_bfi_b32 v56, s6, v56, v67
	v_add_f16_e32 v66, v66, v68
	v_pk_mul_f16 v68, v47, s22 op_sel_hi:[0,1]
	v_pk_add_f16 v55, v55, v56 neg_lo:[0,1] neg_hi:[0,1]
	v_pk_add_f16 v54, v1, v54 op_sel_hi:[0,1]
	v_mul_f16_e32 v56, 0xb836, v47
	v_sub_f16_e32 v69, v84, v68
	v_pk_add_f16 v54, v54, v55
	v_bfi_b32 v55, s6, v57, v84
	v_bfi_b32 v56, s6, v56, v68
	v_add_f16_e32 v66, v66, v69
	v_pk_mul_f16 v69, v48, s24 op_sel_hi:[0,1]
	v_pk_add_f16 v55, v55, v56 neg_lo:[0,1] neg_hi:[0,1]
	v_mul_f16_e32 v56, 0x3964, v48
	v_sub_f16_e32 v70, v85, v69
	v_pk_add_f16 v54, v54, v55
	v_bfi_b32 v55, s6, v90, v85
	v_bfi_b32 v56, s6, v56, v69
	v_add_f16_e32 v66, v70, v66
	v_pk_mul_f16 v70, v49, s25 op_sel_hi:[0,1]
	v_pk_add_f16 v55, v55, v56 neg_lo:[0,1] neg_hi:[0,1]
	;; [unrolled: 8-line block ×5, first 2 shown]
	v_mul_f16_e32 v56, 0x3bf7, v52
	v_pk_add_f16 v54, v55, v54
	v_bfi_b32 v55, s6, v94, v89
	v_bfi_b32 v56, s6, v56, v96
	v_pk_add_f16 v55, v55, v56 neg_lo:[0,1] neg_hi:[0,1]
	v_bfi_b32 v53, s6, v53, v74
	v_pk_add_f16 v56, v55, v54
	v_mul_f16_e32 v54, 0xbbb2, v45
	v_pk_mul_f16 v55, v45, s13 op_sel_hi:[0,1]
	v_bfi_b32 v54, s6, v54, v55
	v_mul_f16_e32 v55, 0x3836, v46
	v_pk_mul_f16 v57, v46, s12 op_sel_hi:[0,1]
	v_pk_add_f16 v53, v53, v54 neg_lo:[0,1] neg_hi:[0,1]
	v_bfi_b32 v54, s6, v58, v75
	v_bfi_b32 v55, s6, v55, v57
	v_pk_add_f16 v54, v54, v55 neg_lo:[0,1] neg_hi:[0,1]
	v_pk_add_f16 v53, v1, v53 op_sel_hi:[0,1]
	v_mul_f16_e32 v55, 0x3964, v47
	v_pk_mul_f16 v57, v47, s19 op_sel_hi:[0,1]
	v_pk_add_f16 v53, v53, v54
	v_bfi_b32 v54, s6, v59, v76
	v_bfi_b32 v55, s6, v55, v57
	v_pk_add_f16 v54, v54, v55 neg_lo:[0,1] neg_hi:[0,1]
	v_mul_f16_e32 v55, 0xbb29, v48
	v_pk_mul_f16 v57, v48, s18 op_sel_hi:[0,1]
	v_pk_add_f16 v53, v53, v54
	v_bfi_b32 v54, s6, v60, v77
	v_bfi_b32 v55, s6, v55, v57
	v_pk_add_f16 v54, v54, v55 neg_lo:[0,1] neg_hi:[0,1]
	;; [unrolled: 6-line block ×5, first 2 shown]
	v_pk_mul_f16 v57, v52, s14 op_sel_hi:[0,1]
	v_pk_add_f16 v53, v54, v53
	v_mul_f16_e32 v54, 0xba62, v52
	s_mov_b32 s7, 0x39643b29
	v_bfi_b32 v55, s6, v64, v81
	v_bfi_b32 v54, s6, v54, v57
	s_mov_b32 s6, 0x39e93722
	v_pk_mul_f16 v45, v45, s7 op_sel_hi:[0,1]
	v_pk_fma_f16 v4, v4, s6, v45 op_sel_hi:[0,1,1]
	s_mov_b32 s7, 0x3bf73a62
	v_pk_add_f16 v1, v1, v4 op_sel_hi:[0,1]
	s_mov_b32 s6, 0x2de8b8d2
	v_pk_mul_f16 v4, v46, s7 op_sel_hi:[0,1]
	v_pk_fma_f16 v4, v5, s6, v4 op_sel_hi:[0,1,1]
	s_mov_b32 s7, 0x3a62b1e1
	v_pk_add_f16 v1, v1, v4
	s_mov_b32 s6, 0xb8d2bbdd
	v_pk_mul_f16 v4, v47, s7 op_sel_hi:[0,1]
	v_pk_fma_f16 v4, v39, s6, v4 op_sel_hi:[0,1,1]
	s_mov_b32 s7, 0x31e1bbb2
	v_pk_add_f16 v1, v1, v4
	;; [unrolled: 5-line block ×5, first 2 shown]
	s_mov_b32 s6, 0x37222de8
	v_pk_mul_f16 v4, v51, s7 op_sel_hi:[0,1]
	v_pk_fma_f16 v4, v43, s6, v4 op_sel_hi:[0,1,1]
	s_mov_b32 s7, 0xb5c83836
	v_sub_f16_e32 v97, v89, v96
	v_pk_add_f16 v1, v4, v1
	s_mov_b32 s6, 0x3b76bacd
	v_pk_mul_f16 v4, v52, s7 op_sel_hi:[0,1]
	v_add_f16_e32 v66, v97, v66
	v_pk_add_f16 v54, v55, v54 neg_lo:[0,1] neg_hi:[0,1]
	v_pk_fma_f16 v4, v44, s6, v4 op_sel_hi:[0,1,1]
	v_pk_add_f16 v54, v54, v53
	v_pk_add_f16 v55, v4, v1
	v_alignbit_b32 v53, v66, v56, 16
	v_pack_b32_f16 v52, v95, v56
	ds_write_b128 v73, v[52:55] offset:16
	ds_write_b16 v73, v65 offset:32
.LBB0_13:
	s_or_b64 exec, exec, s[2:3]
	v_add_u32_e32 v57, 0x165, v0
	v_lshl_add_u32 v1, v0, 1, 0
	v_add_u32_e32 v58, 0xee, v0
	v_lshl_add_u32 v53, v57, 1, 0
	v_add_u32_e32 v55, 0x253, v0
	v_add_u32_e32 v56, 0x1dc, v0
	s_waitcnt lgkmcnt(0)
	s_barrier
	ds_read_u16 v40, v1
	ds_read_u16 v39, v1 offset:238
	v_lshl_add_u32 v5, v58, 1, 0
	v_lshl_add_u32 v4, v56, 1, 0
	ds_read_u16 v49, v1 offset:1904
	ds_read_u16 v48, v1 offset:2142
	ds_read_u16 v46, v1 offset:2380
	ds_read_u16 v47, v1 offset:2618
	v_lshl_add_u32 v54, v55, 1, 0
	ds_read_u16 v44, v53
	ds_read_u16 v43, v4
	;; [unrolled: 1-line block ×3, first 2 shown]
	ds_read_u16 v50, v1 offset:2856
	ds_read_u16 v52, v1 offset:1666
	;; [unrolled: 1-line block ×3, first 2 shown]
	ds_read_u16 v45, v5
	ds_read_u16 v51, v1 offset:3094
	s_waitcnt lgkmcnt(0)
	s_barrier
	s_and_saveexec_b64 s[2:3], s[0:1]
	s_cbranch_execz .LBB0_15
; %bb.14:
	v_add_f16_e32 v59, v6, v32
	v_add_f16_e32 v59, v59, v30
	;; [unrolled: 1-line block ×14, first 2 shown]
	v_sub_f16_e32 v16, v16, v36
	v_add_f16_e32 v59, v37, v59
	v_add_f16_e32 v32, v32, v38
	s_mov_b32 s0, 0xbbdd
	v_mul_f16_e32 v62, 0xb1e1, v16
	v_sub_f16_e32 v14, v14, v34
	v_add_f16_e32 v59, v38, v59
	s_mov_b32 s1, 0xb461
	v_mul_f16_e32 v38, 0xbbb2, v16
	v_fma_f16 v63, v32, s0, -v62
	v_add_f16_e32 v30, v30, v37
	s_movk_i32 s7, 0x3b76
	v_mul_f16_e32 v65, 0x35c8, v14
	v_sub_f16_e32 v13, v13, v31
	v_fma_f16 v60, v32, s1, -v38
	v_add_f16_e32 v63, v6, v63
	s_mov_b32 s6, 0xbacd
	v_mul_f16_e32 v37, 0x3836, v14
	v_fma_f16 v66, v30, s7, -v65
	v_add_f16_e32 v28, v28, v35
	v_mul_f16_e32 v67, 0xb836, v13
	v_sub_f16_e32 v12, v12, v26
	v_add_f16_e32 v60, v6, v60
	v_fma_f16 v64, v30, s6, -v37
	v_add_f16_e32 v63, v63, v66
	s_movk_i32 s8, 0x39e9
	v_mul_f16_e32 v35, 0x3964, v13
	v_fma_f16 v68, v28, s6, -v67
	v_add_f16_e32 v27, v27, v33
	v_mul_f16_e32 v69, 0x3964, v12
	v_add_f16_e32 v60, v60, v64
	v_fma_f16 v66, v28, s8, -v35
	v_add_f16_e32 v63, v63, v68
	s_movk_i32 s9, 0x3722
	v_mul_f16_e32 v33, 0xbb29, v12
	v_fma_f16 v70, v27, s8, -v69
	v_sub_f16_e32 v21, v9, v21
	v_add_f16_e32 v60, v60, v66
	v_fma_f16 v68, v27, s9, -v33
	v_add_f16_e32 v63, v70, v63
	v_add_f16_e32 v24, v24, v29
	v_mul_f16_e32 v70, 0xb1e1, v21
	s_mov_b32 s10, 0xb8d2
	v_mul_f16_e32 v71, 0xba62, v21
	v_sub_f16_e32 v17, v8, v17
	v_add_f16_e32 v60, v68, v60
	v_fma_f16 v9, v24, s0, -v70
	v_fma_f16 v72, v24, s10, -v71
	v_add_f16_e32 v22, v22, v25
	s_movk_i32 s0, 0x2de8
	v_mul_f16_e32 v25, 0x3bf7, v17
	v_mul_f16_e32 v73, 0x3b29, v17
	v_sub_f16_e32 v7, v7, v15
	v_add_f16_e32 v9, v9, v60
	v_add_f16_e32 v63, v72, v63
	v_fma_f16 v72, v22, s0, -v25
	v_fma_f16 v74, v22, s9, -v73
	v_add_f16_e32 v20, v20, v23
	v_mul_f16_e32 v23, 0xb5c8, v7
	v_add_f16_e32 v9, v72, v9
	v_add_f16_e32 v63, v74, v63
	v_fma_f16 v74, v20, s7, -v23
	v_mul_f16_e32 v76, 0xbbb2, v7
	v_add_f16_e32 v74, v74, v9
	v_fma_f16 v9, v20, s1, -v76
	s_mov_b32 s12, 0xb964b5c8
	v_add_f16_e32 v63, v9, v63
	s_mov_b32 s11, 0x39e93b76
	v_pk_mul_f16 v9, v16, s12 op_sel_hi:[0,1]
	v_sub_f16_e32 v10, v10, v11
	v_fma_f16 v11, v32, s7, v9
	v_pk_fma_f16 v9, v32, s11, v9 op_sel_hi:[0,1,1] neg_lo:[0,0,1] neg_hi:[0,0,1]
	s_mov_b32 s11, 0xbbf7b964
	v_add_f16_e32 v18, v18, v19
	s_mov_b32 s7, 0x2de839e9
	v_pk_mul_f16 v19, v14, s11 op_sel_hi:[0,1]
	v_pk_add_f16 v9, v6, v9 op_sel_hi:[0,1]
	v_fma_f16 v77, v30, s8, v19
	v_pk_fma_f16 v19, v30, s7, v19 op_sel_hi:[0,1,1] neg_lo:[0,0,1] neg_hi:[0,0,1]
	s_mov_b32 s8, 0xba62bb29
	v_add_f16_e32 v11, v6, v11
	v_pk_add_f16 v9, v9, v19
	s_mov_b32 s7, 0xb8d23722
	v_pk_mul_f16 v19, v13, s8 op_sel_hi:[0,1]
	v_add_f16_e32 v11, v11, v77
	v_fma_f16 v77, v28, s9, v19
	v_pk_fma_f16 v19, v28, s7, v19 op_sel_hi:[0,1,1] neg_lo:[0,0,1] neg_hi:[0,0,1]
	s_mov_b32 s8, 0xb1e1bbf7
	v_pk_add_f16 v9, v9, v19
	s_mov_b32 s7, 0xbbdd2de8
	v_pk_mul_f16 v19, v12, s8 op_sel_hi:[0,1]
	v_add_f16_e32 v11, v11, v77
	v_fma_f16 v77, v27, s0, v19
	v_pk_fma_f16 v19, v27, s7, v19 op_sel_hi:[0,1,1] neg_lo:[0,0,1] neg_hi:[0,0,1]
	s_mov_b32 s8, 0x3836bbb2
	;; [unrolled: 7-line block ×4, first 2 shown]
	v_pk_add_f16 v9, v19, v9
	v_pk_mul_f16 v19, v7, s7 op_sel_hi:[0,1]
	v_add_f16_e32 v11, v77, v11
	s_mov_b32 s1, 0x3722bacd
	v_fma_f16 v77, v20, s6, v19
	s_mov_b32 s6, 0x35c8b1e1
	v_add_f16_e32 v11, v77, v11
	v_pk_fma_f16 v19, v20, s1, v19 op_sel_hi:[0,1,1] neg_lo:[0,0,1] neg_hi:[0,0,1]
	s_mov_b32 s1, 0x3b76bbdd
	v_pk_mul_f16 v77, v10, s6 op_sel_hi:[0,1]
	v_pk_add_f16 v9, v19, v9
	v_pk_mul_f16 v19, v18, s1 op_sel_hi:[0,1]
	v_pk_fma_f16 v78, v18, s1, v77 op_sel_hi:[0,1,1] neg_lo:[0,0,1] neg_hi:[0,0,1]
	s_mov_b32 s6, 0xbbf7bb29
	v_add_f16_e32 v19, v19, v77
	v_pk_add_f16 v77, v78, v9
	s_mov_b32 s1, 0x2de83722
	v_pk_mul_f16 v78, v16, s6 op_sel_hi:[0,1]
	s_mov_b32 s6, 0xb1e1ba62
	v_add_f16_e32 v19, v19, v11
	v_pk_mul_f16 v11, v32, s1 op_sel_hi:[0,1]
	v_pk_fma_f16 v9, v32, s1, v78 op_sel_hi:[0,1,1] neg_lo:[0,0,1] neg_hi:[0,0,1]
	s_mov_b32 s1, 0xbbddb8d2
	v_pk_mul_f16 v80, v14, s6 op_sel_hi:[0,1]
	s_mov_b32 s6, 0x3bb231e1
	v_pk_add_f16 v9, v6, v9 op_sel_hi:[0,1]
	v_pk_mul_f16 v79, v30, s1 op_sel_hi:[0,1]
	v_pk_fma_f16 v81, v30, s1, v80 op_sel_hi:[0,1,1] neg_lo:[0,0,1] neg_hi:[0,0,1]
	s_mov_b32 s1, 0xb461bbdd
	v_pk_mul_f16 v82, v13, s6 op_sel_hi:[0,1]
	s_mov_b32 s6, 0x35c83bb2
	v_pk_add_f16 v9, v9, v81
	v_pk_mul_f16 v81, v28, s1 op_sel_hi:[0,1]
	v_pk_fma_f16 v83, v28, s1, v82 op_sel_hi:[0,1,1] neg_lo:[0,0,1] neg_hi:[0,0,1]
	s_mov_b32 s1, 0x3b76b461
	v_pk_mul_f16 v84, v12, s6 op_sel_hi:[0,1]
	s_mov_b32 s6, 0xbb293964
	v_pk_add_f16 v9, v9, v83
	;; [unrolled: 6-line block ×6, first 2 shown]
	v_pk_mul_f16 v92, v18, s1 op_sel_hi:[0,1]
	v_pk_fma_f16 v94, v18, s1, v93 op_sel_hi:[0,1,1] neg_lo:[0,0,1] neg_hi:[0,0,1]
	s_mov_b32 s1, 0x39e93722
	v_pk_mul_f16 v9, v16, s6 op_sel_hi:[0,1]
	s_mov_b32 s6, 0xbbf7ba62
	v_pk_fma_f16 v9, v32, s1, v9 op_sel_hi:[0,1,1]
	s_mov_b32 s1, 0x2de8b8d2
	v_pk_mul_f16 v95, v14, s6 op_sel_hi:[0,1]
	v_pk_add_f16 v9, v6, v9 op_sel_hi:[0,1]
	v_pk_fma_f16 v95, v30, s1, v95 op_sel_hi:[0,1,1]
	s_mov_b32 s6, 0xba6231e1
	v_pk_add_f16 v9, v9, v95
	s_mov_b32 s1, 0xb8d2bbdd
	v_pk_mul_f16 v95, v13, s6 op_sel_hi:[0,1]
	v_pk_fma_f16 v95, v28, s1, v95 op_sel_hi:[0,1,1]
	s_mov_b32 s6, 0xb1e13bb2
	v_pk_add_f16 v9, v9, v95
	s_mov_b32 s1, 0xbbddb461
	v_pk_mul_f16 v95, v12, s6 op_sel_hi:[0,1]
	;; [unrolled: 5-line block ×6, first 2 shown]
	v_mul_f16_e32 v36, 0xb461, v32
	v_pk_fma_f16 v95, v18, s1, v95 op_sel_hi:[0,1,1]
	s_mov_b32 s1, 0xffff
	v_mul_f16_e32 v34, 0xbacd, v30
	v_bfi_b32 v11, s1, v36, v11
	v_bfi_b32 v36, s1, v38, v78
	v_pk_add_f16 v11, v11, v36
	v_bfi_b32 v34, s1, v34, v79
	v_bfi_b32 v36, s1, v37, v80
	v_mul_f16_e32 v31, 0x39e9, v28
	v_pk_add_f16 v11, v6, v11 op_sel_hi:[0,1]
	v_pk_add_f16 v34, v34, v36
	v_bfi_b32 v31, s1, v31, v81
	v_pk_add_f16 v11, v11, v34
	v_bfi_b32 v34, s1, v35, v82
	v_mul_f16_e32 v26, 0x3722, v27
	v_pk_add_f16 v31, v31, v34
	v_bfi_b32 v26, s1, v26, v83
	v_pk_add_f16 v11, v11, v31
	v_bfi_b32 v31, s1, v33, v84
	v_mul_f16_e32 v29, 0xbbdd, v24
	v_pk_add_f16 v26, v26, v31
	v_mul_f16_e32 v8, 0x2de8, v22
	v_pk_add_f16 v11, v26, v11
	v_bfi_b32 v26, s1, v29, v85
	v_bfi_b32 v29, s1, v70, v86
	v_pk_add_f16 v26, v26, v29
	v_bfi_b32 v8, s1, v8, v87
	v_bfi_b32 v25, s1, v25, v88
	v_mul_f16_e32 v15, 0x3b76, v20
	v_pk_add_f16 v11, v26, v11
	v_pk_add_f16 v8, v8, v25
	;; [unrolled: 1-line block ×4, first 2 shown]
	v_bfi_b32 v11, s1, v15, v89
	v_bfi_b32 v15, s1, v23, v90
	v_pk_add_f16 v91, v94, v91
	v_mul_f16_e32 v94, 0xb8d2, v18
	v_mul_f16_e32 v95, 0xba62, v10
	v_pk_add_f16 v11, v11, v15
	v_bfi_b32 v15, s1, v95, v93
	v_pk_add_f16 v8, v11, v8
	v_bfi_b32 v11, s1, v94, v92
	s_mov_b32 s7, 0xb836ba62
	v_pk_add_f16 v11, v11, v15
	s_mov_b32 s6, 0xbacdb8d2
	v_pk_mul_f16 v15, v16, s7 op_sel_hi:[0,1]
	v_pk_add_f16 v8, v11, v8
	v_pk_mul_f16 v11, v32, s6 op_sel_hi:[0,1]
	v_pk_fma_f16 v23, v32, s6, v15 op_sel_hi:[0,1,1] neg_lo:[0,0,1] neg_hi:[0,0,1]
	s_mov_b32 s6, 0x3722b461
	s_mov_b32 s7, 0x3b293bb2
	v_mul_f16_e32 v61, 0xbbdd, v32
	v_add_f16_e32 v16, v11, v15
	v_pk_mul_f16 v25, v30, s6 op_sel_hi:[0,1]
	v_pk_mul_f16 v14, v14, s7 op_sel_hi:[0,1]
	v_add_f16_e32 v16, v6, v16
	v_add_f16_e32 v26, v25, v14
	v_bfi_b32 v11, s1, v61, v11
	v_bfi_b32 v15, s1, v62, v15
	v_mul_f16_e32 v64, 0x3b76, v30
	v_pk_add_f16 v23, v6, v23 op_sel_hi:[0,1]
	v_add_f16_e32 v16, v16, v26
	v_pk_fma_f16 v26, v30, s6, v14 op_sel_hi:[0,1,1] neg_lo:[0,0,1] neg_hi:[0,0,1]
	s_mov_b32 s6, 0x2de83b76
	s_mov_b32 s7, 0xbbf7b5c8
	v_pk_add_f16 v11, v11, v15
	v_pk_add_f16 v23, v23, v26
	v_pk_mul_f16 v26, v28, s6 op_sel_hi:[0,1]
	v_pk_mul_f16 v29, v13, s7 op_sel_hi:[0,1]
	v_pk_add_f16 v6, v6, v11 op_sel_hi:[0,1]
	v_bfi_b32 v11, s1, v64, v25
	v_bfi_b32 v14, s1, v65, v14
	v_mul_f16_e32 v66, 0xbacd, v28
	v_add_f16_e32 v13, v26, v29
	v_pk_add_f16 v11, v11, v14
	v_add_f16_e32 v13, v16, v13
	v_pk_fma_f16 v16, v28, s6, v29 op_sel_hi:[0,1,1] neg_lo:[0,0,1] neg_hi:[0,0,1]
	s_mov_b32 s6, 0xb8d2bacd
	s_mov_b32 s7, 0x3a62b836
	v_pk_add_f16 v6, v6, v11
	v_bfi_b32 v11, s1, v66, v26
	v_bfi_b32 v14, s1, v67, v29
	v_mul_f16_e32 v68, 0x39e9, v27
	v_pk_add_f16 v16, v23, v16
	v_pk_mul_f16 v23, v27, s6 op_sel_hi:[0,1]
	v_pk_mul_f16 v12, v12, s7 op_sel_hi:[0,1]
	s_mov_b32 s7, 0xb5c83bf7
	v_pk_add_f16 v11, v11, v14
	v_add_f16_e32 v28, v23, v12
	v_pk_fma_f16 v27, v27, s6, v12 op_sel_hi:[0,1,1] neg_lo:[0,0,1] neg_hi:[0,0,1]
	s_mov_b32 s6, 0x3b762de8
	v_pk_mul_f16 v21, v21, s7 op_sel_hi:[0,1]
	s_mov_b32 s7, 0xb1e1b964
	v_pk_add_f16 v6, v6, v11
	v_bfi_b32 v11, s1, v68, v23
	v_bfi_b32 v12, s1, v69, v12
	v_mul_f16_e32 v60, 0xb8d2, v24
	v_pk_add_f16 v16, v27, v16
	v_pk_mul_f16 v27, v24, s6 op_sel_hi:[0,1]
	v_pk_fma_f16 v24, v24, s6, v21 op_sel_hi:[0,1,1] neg_lo:[0,0,1] neg_hi:[0,0,1]
	s_mov_b32 s6, 0xbbdd39e9
	v_pk_mul_f16 v17, v17, s7 op_sel_hi:[0,1]
	v_pk_add_f16 v11, v11, v12
	v_mul_f16_e32 v72, 0x3722, v22
	v_add_f16_e32 v13, v28, v13
	v_add_f16_e32 v28, v27, v21
	v_pk_add_f16 v16, v24, v16
	v_pk_mul_f16 v24, v22, s6 op_sel_hi:[0,1]
	v_pk_fma_f16 v22, v22, s6, v17 op_sel_hi:[0,1,1] neg_lo:[0,0,1] neg_hi:[0,0,1]
	s_mov_b32 s6, 0x39e9bbdd
	s_mov_b32 s7, 0x3964b1e1
	v_pk_add_f16 v6, v11, v6
	v_bfi_b32 v11, s1, v60, v27
	v_bfi_b32 v12, s1, v71, v21
	v_add_f16_e32 v13, v28, v13
	v_add_f16_e32 v28, v24, v17
	v_pk_add_f16 v16, v22, v16
	v_pk_mul_f16 v22, v20, s6 op_sel_hi:[0,1]
	v_pk_mul_f16 v7, v7, s7 op_sel_hi:[0,1]
	v_pk_add_f16 v11, v11, v12
	v_mul_f16_e32 v75, 0xb461, v20
	v_add_f16_e32 v13, v28, v13
	v_add_f16_e32 v28, v22, v7
	v_pk_fma_f16 v20, v20, s6, v7 op_sel_hi:[0,1,1] neg_lo:[0,0,1] neg_hi:[0,0,1]
	s_mov_b32 s6, 0xb4613722
	s_mov_b32 s7, 0xbbb23b29
	v_pk_add_f16 v6, v11, v6
	v_bfi_b32 v11, s1, v72, v24
	v_bfi_b32 v12, s1, v73, v17
	v_add_f16_e32 v13, v28, v13
	v_pk_add_f16 v16, v20, v16
	v_pk_mul_f16 v20, v18, s6 op_sel_hi:[0,1]
	v_pk_mul_f16 v28, v10, s7 op_sel_hi:[0,1]
	v_pk_add_f16 v11, v11, v12
	v_pk_fma_f16 v30, v18, s6, v28 op_sel_hi:[0,1,1] neg_lo:[0,0,1] neg_hi:[0,0,1]
	v_add_f16_e32 v31, v20, v28
	v_pk_add_f16 v6, v11, v6
	v_bfi_b32 v11, s1, v75, v22
	v_bfi_b32 v7, s1, v76, v7
	v_add_f16_e32 v31, v31, v13
	v_pk_add_f16 v13, v30, v16
	v_mul_f16_e32 v16, 0x2de8, v18
	v_mul_f16_e32 v10, 0x3bf7, v10
	v_pk_add_f16 v7, v11, v7
	v_fma_f16 v96, v18, s10, -v95
	v_fma_f16 v18, v18, s0, -v10
	v_pk_add_f16 v6, v7, v6
	v_bfi_b32 v7, s1, v16, v20
	v_bfi_b32 v10, s1, v10, v28
	v_pk_add_f16 v7, v7, v10
	v_add_f16_e32 v74, v96, v74
	v_add_f16_e32 v18, v18, v63
	v_pk_add_f16 v6, v7, v6
	v_lshl_add_u32 v14, v0, 5, v1
	v_alignbit_b32 v12, v74, v91, 16
	v_alignbit_b32 v11, v91, v77, 16
	v_pack_b32_f16 v10, v59, v77
	v_alignbit_b32 v7, v31, v6, 16
	v_pack_b32_f16 v6, v18, v6
	ds_write_b128 v14, v[10:13]
	ds_write_b128 v14, v[6:9] offset:16
	ds_write_b16 v14, v19 offset:32
.LBB0_15:
	s_or_b64 exec, exec, s[2:3]
	v_add_u32_e32 v6, 0x77, v0
	s_movk_i32 s0, 0xf1
	v_mul_lo_u16_sdwa v7, v0, s0 dst_sel:DWORD dst_unused:UNUSED_PAD src0_sel:BYTE_0 src1_sel:DWORD
	v_mul_lo_u16_sdwa v12, v6, s0 dst_sel:DWORD dst_unused:UNUSED_PAD src0_sel:BYTE_0 src1_sel:DWORD
	s_mov_b32 s0, 0xf0f1
	v_add_u32_e32 v27, 0x2ca, v0
	v_mul_u32_u24_sdwa v15, v58, s0 dst_sel:DWORD dst_unused:UNUSED_PAD src0_sel:WORD_0 src1_sel:DWORD
	v_mul_u32_u24_sdwa v18, v57, s0 dst_sel:DWORD dst_unused:UNUSED_PAD src0_sel:WORD_0 src1_sel:DWORD
	;; [unrolled: 1-line block ×5, first 2 shown]
	v_lshrrev_b16_e32 v8, 12, v7
	v_lshrrev_b16_e32 v13, 12, v12
	v_lshrrev_b32_e32 v15, 20, v15
	v_lshrrev_b32_e32 v18, 20, v18
	;; [unrolled: 1-line block ×5, first 2 shown]
	v_mul_lo_u16_e32 v9, 17, v8
	v_mul_lo_u16_e32 v14, 17, v13
	;; [unrolled: 1-line block ×7, first 2 shown]
	v_sub_u16_e32 v9, v0, v9
	v_mov_b32_e32 v10, 2
	v_sub_u16_e32 v14, v6, v14
	v_sub_u16_e32 v16, v58, v16
	;; [unrolled: 1-line block ×6, first 2 shown]
	v_lshlrev_b32_sdwa v11, v10, v9 dst_sel:DWORD dst_unused:UNUSED_PAD src0_sel:DWORD src1_sel:BYTE_0
	v_lshlrev_b32_sdwa v10, v10, v14 dst_sel:DWORD dst_unused:UNUSED_PAD src0_sel:DWORD src1_sel:BYTE_0
	v_lshlrev_b32_e32 v17, 2, v16
	v_lshlrev_b32_e32 v20, 2, v19
	;; [unrolled: 1-line block ×5, first 2 shown]
	s_waitcnt lgkmcnt(0)
	s_barrier
	global_load_dword v11, v11, s[4:5]
	v_mul_u32_u24_e32 v8, 0x44, v8
	global_load_dword v17, v17, s[4:5]
	s_mov_b32 s1, 0x5040100
	global_load_dword v20, v20, s[4:5]
	s_movk_i32 s0, 0x44
	global_load_dword v23, v23, s[4:5]
	v_lshrrev_b16_e32 v7, 13, v7
	global_load_dword v26, v26, s[4:5]
	s_movk_i32 s10, 0x2b26
	global_load_dword v29, v29, s[4:5]
	s_mov_b32 s8, 0xbcab
	global_load_dword v10, v10, s[4:5]
	ds_read_u16 v30, v1
	ds_read_u16 v31, v1 offset:238
	ds_read_u16 v32, v1 offset:1904
	;; [unrolled: 1-line block ×5, first 2 shown]
	ds_read_u16 v36, v53
	ds_read_u16 v37, v4
	;; [unrolled: 1-line block ×3, first 2 shown]
	ds_read_u16 v53, v1 offset:1666
	ds_read_u16 v54, v1 offset:2856
	;; [unrolled: 1-line block ×3, first 2 shown]
	ds_read_u16 v56, v5
	ds_read_u16 v57, v1 offset:3094
	s_waitcnt lgkmcnt(0)
	s_barrier
	s_mov_b32 s2, 0xb9e0
	s_mov_b32 s9, 0xb574
	s_movk_i32 s3, 0x3574
	s_mov_b32 s6, 0xb70e
	s_movk_i32 s7, 0x3a52
	s_waitcnt vmcnt(6)
	v_mul_f16_sdwa v58, v53, v11 dst_sel:DWORD dst_unused:UNUSED_PAD src0_sel:DWORD src1_sel:WORD_1
	v_mul_f16_sdwa v59, v52, v11 dst_sel:DWORD dst_unused:UNUSED_PAD src0_sel:DWORD src1_sel:WORD_1
	s_waitcnt vmcnt(5)
	v_mul_f16_sdwa v62, v33, v17 dst_sel:DWORD dst_unused:UNUSED_PAD src0_sel:DWORD src1_sel:WORD_1
	v_mul_f16_sdwa v63, v48, v17 dst_sel:DWORD dst_unused:UNUSED_PAD src0_sel:DWORD src1_sel:WORD_1
	;; [unrolled: 3-line block ×5, first 2 shown]
	v_fma_f16 v52, v52, v11, v58
	v_fma_f16 v11, v53, v11, -v59
	s_waitcnt vmcnt(0)
	v_mul_f16_sdwa v60, v32, v10 dst_sel:DWORD dst_unused:UNUSED_PAD src0_sel:DWORD src1_sel:WORD_1
	v_mul_f16_sdwa v61, v49, v10 dst_sel:DWORD dst_unused:UNUSED_PAD src0_sel:DWORD src1_sel:WORD_1
	v_fma_f16 v49, v49, v10, v60
	v_fma_f16 v10, v32, v10, -v61
	v_fma_f16 v32, v48, v17, v62
	v_fma_f16 v17, v33, v17, -v63
	v_fma_f16 v33, v46, v20, v64
	v_mul_f16_sdwa v46, v57, v29 dst_sel:DWORD dst_unused:UNUSED_PAD src0_sel:DWORD src1_sel:WORD_1
	v_fma_f16 v20, v34, v20, -v65
	v_fma_f16 v34, v47, v23, v66
	v_fma_f16 v46, v51, v29, v46
	v_mul_f16_sdwa v47, v51, v29 dst_sel:DWORD dst_unused:UNUSED_PAD src0_sel:DWORD src1_sel:WORD_1
	v_mov_b32_e32 v51, 1
	v_lshlrev_b32_sdwa v9, v51, v9 dst_sel:DWORD dst_unused:UNUSED_PAD src0_sel:DWORD src1_sel:BYTE_0
	v_add3_u32 v8, 0, v8, v9
	v_mul_u32_u24_e32 v9, 0x44, v13
	v_lshlrev_b32_sdwa v13, v51, v14 dst_sel:DWORD dst_unused:UNUSED_PAD src0_sel:DWORD src1_sel:BYTE_0
	v_add3_u32 v9, 0, v9, v13
	v_perm_b32 v13, v18, v15, s1
	v_pk_mul_lo_u16 v13, v13, s0 op_sel_hi:[1,0]
	v_lshlrev_b32_e32 v15, 1, v16
	v_and_b32_e32 v14, 0xfffc, v13
	v_add3_u32 v14, 0, v14, v15
	v_lshrrev_b32_e32 v13, 16, v13
	v_lshlrev_b32_e32 v15, 1, v19
	v_add3_u32 v13, 0, v13, v15
	v_perm_b32 v15, v24, v21, s1
	v_pk_mul_lo_u16 v15, v15, s0 op_sel_hi:[1,0]
	v_lshlrev_b32_e32 v18, 1, v22
	v_and_b32_e32 v16, 0xfffc, v15
	v_fma_f16 v23, v35, v23, -v67
	v_fma_f16 v35, v50, v26, v68
	v_add3_u32 v16, 0, v16, v18
	v_lshrrev_b32_e32 v15, 16, v15
	v_lshlrev_b32_e32 v18, 1, v25
	v_fma_f16 v26, v54, v26, -v69
	v_fma_f16 v29, v57, v29, -v47
	v_sub_f16_e32 v47, v40, v52
	v_sub_f16_e32 v11, v30, v11
	;; [unrolled: 1-line block ×8, first 2 shown]
	v_add3_u32 v15, 0, v15, v18
	v_mul_u32_u24_e32 v18, 0x44, v28
	v_lshlrev_b32_e32 v19, 1, v27
	v_fma_f16 v40, v40, 2.0, -v47
	v_fma_f16 v30, v30, 2.0, -v11
	v_sub_f16_e32 v10, v31, v10
	v_fma_f16 v39, v39, 2.0, -v48
	v_sub_f16_e32 v17, v56, v17
	;; [unrolled: 2-line block ×6, first 2 shown]
	v_fma_f16 v41, v41, 2.0, -v46
	v_add3_u32 v18, 0, v18, v19
	v_fma_f16 v31, v31, 2.0, -v10
	v_fma_f16 v49, v56, 2.0, -v17
	;; [unrolled: 1-line block ×6, first 2 shown]
	ds_write_b16 v8, v40
	ds_write_b16 v8, v47 offset:34
	ds_write_b16 v9, v39
	ds_write_b16 v9, v48 offset:34
	;; [unrolled: 2-line block ×7, first 2 shown]
	s_waitcnt lgkmcnt(0)
	s_barrier
	ds_read_u16 v21, v4
	ds_read_u16 v22, v1 offset:2380
	ds_read_u16 v24, v1
	ds_read_u16 v25, v1 offset:238
	ds_read_u16 v27, v1 offset:714
	;; [unrolled: 1-line block ×7, first 2 shown]
	ds_read_u16 v39, v5
	ds_read_u16 v40, v1 offset:3094
	ds_read_u16 v41, v1 offset:2856
	;; [unrolled: 1-line block ×3, first 2 shown]
	s_waitcnt lgkmcnt(0)
	s_barrier
	ds_write_b16 v8, v30
	ds_write_b16 v8, v11 offset:34
	ds_write_b16 v9, v31
	ds_write_b16 v9, v10 offset:34
	;; [unrolled: 2-line block ×7, first 2 shown]
	v_mul_lo_u16_e32 v8, 34, v7
	v_sub_u16_e32 v20, v0, v8
	v_mov_b32_e32 v13, 6
	v_mul_u32_u24_sdwa v8, v20, v13 dst_sel:DWORD dst_unused:UNUSED_PAD src0_sel:BYTE_0 src1_sel:DWORD
	v_lshlrev_b32_e32 v14, 2, v8
	s_waitcnt lgkmcnt(0)
	s_barrier
	global_load_dwordx4 v[8:11], v14, s[4:5] offset:68
	global_load_dwordx2 v[16:17], v14, s[4:5] offset:84
	v_lshrrev_b16_e32 v23, 13, v12
	v_mul_lo_u16_e32 v12, 34, v23
	v_sub_u16_e32 v26, v6, v12
	v_mul_u32_u24_sdwa v12, v26, v13 dst_sel:DWORD dst_unused:UNUSED_PAD src0_sel:BYTE_0 src1_sel:DWORD
	v_lshlrev_b32_e32 v29, 2, v12
	global_load_dwordx4 v[12:15], v29, s[4:5] offset:68
	global_load_dwordx2 v[18:19], v29, s[4:5] offset:84
	ds_read_u16 v29, v5
	ds_read_u16 v30, v4
	ds_read_u16 v31, v1 offset:2380
	ds_read_u16 v36, v1
	ds_read_u16 v37, v1 offset:238
	ds_read_u16 v38, v1 offset:714
	ds_read_u16 v43, v1 offset:2142
	ds_read_u16 v44, v1 offset:1904
	ds_read_u16 v45, v1 offset:1666
	ds_read_u16 v46, v1 offset:1428
	ds_read_u16 v47, v1 offset:1190
	ds_read_u16 v48, v1 offset:3094
	ds_read_u16 v49, v1 offset:2856
	ds_read_u16 v50, v1 offset:2618
	s_mov_b32 s0, 0xbb00
	s_movk_i32 s1, 0x39e0
	v_mul_u32_u24_e32 v7, 0x1dc, v7
	s_waitcnt lgkmcnt(0)
	s_barrier
	s_waitcnt vmcnt(3)
	v_mul_f16_sdwa v52, v29, v8 dst_sel:DWORD dst_unused:UNUSED_PAD src0_sel:DWORD src1_sel:WORD_1
	v_fma_f16 v52, v39, v8, v52
	v_mul_f16_sdwa v39, v39, v8 dst_sel:DWORD dst_unused:UNUSED_PAD src0_sel:DWORD src1_sel:WORD_1
	v_fma_f16 v8, v29, v8, -v39
	v_mul_f16_sdwa v29, v30, v9 dst_sel:DWORD dst_unused:UNUSED_PAD src0_sel:DWORD src1_sel:WORD_1
	v_fma_f16 v29, v21, v9, v29
	v_mul_f16_sdwa v21, v21, v9 dst_sel:DWORD dst_unused:UNUSED_PAD src0_sel:DWORD src1_sel:WORD_1
	v_fma_f16 v9, v30, v9, -v21
	v_mul_f16_sdwa v21, v46, v10 dst_sel:DWORD dst_unused:UNUSED_PAD src0_sel:DWORD src1_sel:WORD_1
	v_mul_f16_sdwa v30, v34, v10 dst_sel:DWORD dst_unused:UNUSED_PAD src0_sel:DWORD src1_sel:WORD_1
	v_fma_f16 v21, v34, v10, v21
	v_fma_f16 v10, v46, v10, -v30
	v_mul_f16_sdwa v30, v44, v11 dst_sel:DWORD dst_unused:UNUSED_PAD src0_sel:DWORD src1_sel:WORD_1
	v_fma_f16 v30, v32, v11, v30
	v_mul_f16_sdwa v32, v32, v11 dst_sel:DWORD dst_unused:UNUSED_PAD src0_sel:DWORD src1_sel:WORD_1
	v_fma_f16 v11, v44, v11, -v32
	s_waitcnt vmcnt(2)
	v_mul_f16_sdwa v32, v31, v16 dst_sel:DWORD dst_unused:UNUSED_PAD src0_sel:DWORD src1_sel:WORD_1
	v_fma_f16 v32, v22, v16, v32
	v_mul_f16_sdwa v22, v22, v16 dst_sel:DWORD dst_unused:UNUSED_PAD src0_sel:DWORD src1_sel:WORD_1
	v_fma_f16 v16, v31, v16, -v22
	v_mul_f16_sdwa v22, v49, v17 dst_sel:DWORD dst_unused:UNUSED_PAD src0_sel:DWORD src1_sel:WORD_1
	v_mul_f16_sdwa v31, v41, v17 dst_sel:DWORD dst_unused:UNUSED_PAD src0_sel:DWORD src1_sel:WORD_1
	v_fma_f16 v22, v41, v17, v22
	v_fma_f16 v17, v49, v17, -v31
	s_waitcnt vmcnt(1)
	v_mul_f16_sdwa v31, v38, v12 dst_sel:DWORD dst_unused:UNUSED_PAD src0_sel:DWORD src1_sel:WORD_1
	v_fma_f16 v31, v27, v12, v31
	v_mul_f16_sdwa v27, v27, v12 dst_sel:DWORD dst_unused:UNUSED_PAD src0_sel:DWORD src1_sel:WORD_1
	v_fma_f16 v12, v38, v12, -v27
	v_mul_f16_sdwa v27, v47, v13 dst_sel:DWORD dst_unused:UNUSED_PAD src0_sel:DWORD src1_sel:WORD_1
	v_mul_f16_sdwa v34, v35, v13 dst_sel:DWORD dst_unused:UNUSED_PAD src0_sel:DWORD src1_sel:WORD_1
	v_fma_f16 v27, v35, v13, v27
	v_fma_f16 v13, v47, v13, -v34
	v_mul_f16_sdwa v34, v45, v14 dst_sel:DWORD dst_unused:UNUSED_PAD src0_sel:DWORD src1_sel:WORD_1
	v_fma_f16 v34, v33, v14, v34
	v_mul_f16_sdwa v33, v33, v14 dst_sel:DWORD dst_unused:UNUSED_PAD src0_sel:DWORD src1_sel:WORD_1
	v_fma_f16 v14, v45, v14, -v33
	v_mul_f16_sdwa v33, v43, v15 dst_sel:DWORD dst_unused:UNUSED_PAD src0_sel:DWORD src1_sel:WORD_1
	v_fma_f16 v33, v28, v15, v33
	v_mul_f16_sdwa v28, v28, v15 dst_sel:DWORD dst_unused:UNUSED_PAD src0_sel:DWORD src1_sel:WORD_1
	v_fma_f16 v15, v43, v15, -v28
	s_waitcnt vmcnt(0)
	v_mul_f16_sdwa v28, v50, v18 dst_sel:DWORD dst_unused:UNUSED_PAD src0_sel:DWORD src1_sel:WORD_1
	v_mul_f16_sdwa v35, v42, v18 dst_sel:DWORD dst_unused:UNUSED_PAD src0_sel:DWORD src1_sel:WORD_1
	v_fma_f16 v28, v42, v18, v28
	v_fma_f16 v18, v50, v18, -v35
	v_mul_f16_sdwa v35, v48, v19 dst_sel:DWORD dst_unused:UNUSED_PAD src0_sel:DWORD src1_sel:WORD_1
	v_mul_f16_sdwa v38, v40, v19 dst_sel:DWORD dst_unused:UNUSED_PAD src0_sel:DWORD src1_sel:WORD_1
	v_fma_f16 v35, v40, v19, v35
	v_fma_f16 v19, v48, v19, -v38
	v_add_f16_e32 v38, v52, v22
	v_add_f16_e32 v39, v8, v17
	v_sub_f16_e32 v8, v8, v17
	v_add_f16_e32 v17, v29, v32
	v_add_f16_e32 v40, v9, v16
	v_sub_f16_e32 v22, v52, v22
	v_sub_f16_e32 v29, v29, v32
	;; [unrolled: 1-line block ×3, first 2 shown]
	v_add_f16_e32 v16, v21, v30
	v_add_f16_e32 v32, v10, v11
	v_sub_f16_e32 v21, v30, v21
	v_sub_f16_e32 v10, v11, v10
	v_add_f16_e32 v11, v17, v38
	v_add_f16_e32 v30, v40, v39
	v_sub_f16_e32 v41, v17, v38
	v_sub_f16_e32 v42, v40, v39
	;; [unrolled: 1-line block ×6, first 2 shown]
	v_add_f16_e32 v43, v21, v29
	v_add_f16_e32 v44, v10, v9
	v_sub_f16_e32 v45, v21, v29
	v_sub_f16_e32 v46, v10, v9
	;; [unrolled: 1-line block ×4, first 2 shown]
	v_add_f16_e32 v11, v16, v11
	v_add_f16_e32 v16, v32, v30
	v_sub_f16_e32 v21, v22, v21
	v_sub_f16_e32 v10, v8, v10
	v_add_f16_e32 v22, v43, v22
	v_add_f16_e32 v8, v44, v8
	;; [unrolled: 1-line block ×4, first 2 shown]
	v_mul_f16_e32 v32, 0x3a52, v38
	v_mul_f16_e32 v36, 0x3a52, v39
	;; [unrolled: 1-line block ×8, first 2 shown]
	v_fma_f16 v11, v11, s8, v24
	v_fma_f16 v16, v16, s8, v30
	;; [unrolled: 1-line block ×4, first 2 shown]
	v_fma_f16 v38, v41, s1, -v38
	v_fma_f16 v39, v42, s1, -v39
	;; [unrolled: 1-line block ×4, first 2 shown]
	v_fma_f16 v41, v21, s9, v43
	v_fma_f16 v42, v10, s9, v44
	v_fma_f16 v9, v9, s0, -v44
	v_fma_f16 v21, v21, s3, -v45
	v_fma_f16 v10, v10, s3, -v46
	v_add_f16_e32 v17, v17, v11
	v_add_f16_e32 v40, v40, v16
	;; [unrolled: 1-line block ×6, first 2 shown]
	v_fma_f16 v36, v8, s6, v42
	v_fma_f16 v9, v8, s6, v9
	;; [unrolled: 1-line block ×4, first 2 shown]
	v_fma_f16 v29, v29, s0, -v43
	v_fma_f16 v32, v22, s6, v41
	v_add_f16_e32 v10, v36, v17
	v_add_f16_e32 v41, v8, v11
	v_sub_f16_e32 v42, v16, v21
	v_sub_f16_e32 v8, v11, v8
	v_add_f16_e32 v21, v21, v16
	v_sub_f16_e32 v11, v17, v36
	v_add_f16_e32 v16, v31, v35
	v_add_f16_e32 v17, v12, v19
	v_sub_f16_e32 v31, v31, v35
	v_sub_f16_e32 v12, v12, v19
	v_add_f16_e32 v19, v27, v28
	v_add_f16_e32 v35, v13, v18
	v_fma_f16 v29, v22, s6, v29
	v_sub_f16_e32 v27, v27, v28
	v_sub_f16_e32 v13, v13, v18
	v_add_f16_e32 v18, v34, v33
	v_add_f16_e32 v28, v14, v15
	v_sub_f16_e32 v33, v33, v34
	v_sub_f16_e32 v14, v15, v14
	v_add_f16_e32 v15, v19, v16
	v_add_f16_e32 v34, v35, v17
	v_sub_f16_e32 v43, v38, v9
	v_add_f16_e32 v44, v29, v39
	v_add_f16_e32 v9, v9, v38
	v_sub_f16_e32 v29, v39, v29
	v_sub_f16_e32 v36, v19, v16
	;; [unrolled: 1-line block ×6, first 2 shown]
	v_add_f16_e32 v39, v33, v27
	v_sub_f16_e32 v45, v33, v27
	v_sub_f16_e32 v27, v27, v31
	v_add_f16_e32 v15, v18, v15
	v_add_f16_e32 v18, v28, v34
	v_sub_f16_e32 v22, v40, v32
	v_add_f16_e32 v32, v32, v40
	v_sub_f16_e32 v35, v28, v35
	;; [unrolled: 2-line block ×3, first 2 shown]
	v_sub_f16_e32 v33, v31, v33
	v_add_f16_e32 v28, v39, v31
	v_add_f16_e32 v25, v25, v15
	;; [unrolled: 1-line block ×3, first 2 shown]
	v_mul_f16_e32 v16, 0x3a52, v16
	v_mul_f16_e32 v17, 0x3a52, v17
	v_mul_f16_e32 v34, 0x2b26, v19
	v_mul_f16_e32 v39, 0x3846, v45
	v_mul_f16_e32 v45, 0xbb00, v27
	v_sub_f16_e32 v14, v12, v14
	v_sub_f16_e32 v13, v13, v12
	v_add_f16_e32 v12, v40, v12
	v_mul_f16_e32 v37, 0x2b26, v35
	v_mul_f16_e32 v40, 0x3846, v46
	v_fma_f16 v15, v15, s8, v25
	v_fma_f16 v18, v18, s8, v31
	v_fma_f16 v19, v19, s10, v16
	v_fma_f16 v35, v35, s10, v17
	v_fma_f16 v34, v36, s1, -v34
	v_fma_f16 v16, v36, s2, -v16
	;; [unrolled: 1-line block ×3, first 2 shown]
	v_fma_f16 v36, v33, s9, v39
	v_fma_f16 v27, v27, s0, -v39
	v_fma_f16 v33, v33, s3, -v45
	v_mul_f16_e32 v46, 0xbb00, v13
	v_fma_f16 v37, v38, s1, -v37
	v_fma_f16 v38, v14, s9, v40
	v_fma_f16 v13, v13, s0, -v40
	v_add_f16_e32 v19, v19, v15
	v_add_f16_e32 v34, v34, v15
	;; [unrolled: 1-line block ×4, first 2 shown]
	v_fma_f16 v17, v28, s6, v36
	v_fma_f16 v27, v28, s6, v27
	;; [unrolled: 1-line block ×3, first 2 shown]
	v_add_f16_e32 v35, v35, v18
	v_add_f16_e32 v37, v37, v18
	v_fma_f16 v18, v12, s6, v38
	v_fma_f16 v13, v12, s6, v13
	v_sub_f16_e32 v38, v16, v28
	v_add_f16_e32 v28, v28, v16
	v_lshlrev_b32_sdwa v16, v51, v20 dst_sel:DWORD dst_unused:UNUSED_PAD src0_sel:DWORD src1_sel:BYTE_0
	v_fma_f16 v14, v14, s3, -v46
	v_sub_f16_e32 v33, v35, v17
	v_sub_f16_e32 v39, v34, v13
	v_add_f16_e32 v13, v13, v34
	v_add_f16_e32 v34, v17, v35
	v_add3_u32 v35, 0, v7, v16
	v_fma_f16 v12, v12, s6, v14
	ds_write_b16 v35, v24
	ds_write_b16 v35, v10 offset:68
	ds_write_b16 v35, v41 offset:136
	;; [unrolled: 1-line block ×6, first 2 shown]
	v_mul_u32_u24_e32 v7, 0x1dc, v23
	v_lshlrev_b32_sdwa v8, v51, v26 dst_sel:DWORD dst_unused:UNUSED_PAD src0_sel:DWORD src1_sel:BYTE_0
	v_add_f16_e32 v14, v18, v19
	v_add_f16_e32 v36, v12, v15
	v_sub_f16_e32 v12, v15, v12
	v_sub_f16_e32 v15, v19, v18
	v_add3_u32 v23, 0, v7, v8
	ds_write_b16 v23, v25
	ds_write_b16 v23, v14 offset:68
	ds_write_b16 v23, v36 offset:136
	;; [unrolled: 1-line block ×6, first 2 shown]
	s_waitcnt lgkmcnt(0)
	s_barrier
	ds_read_u16 v8, v4
	ds_read_u16 v9, v1 offset:2380
	ds_read_u16 v7, v1
	ds_read_u16 v14, v1 offset:238
	ds_read_u16 v15, v1 offset:714
	;; [unrolled: 1-line block ×7, first 2 shown]
	ds_read_u16 v12, v5
	ds_read_u16 v20, v1 offset:3094
	ds_read_u16 v13, v1 offset:2856
	;; [unrolled: 1-line block ×3, first 2 shown]
	v_add_f16_e32 v40, v27, v37
	v_sub_f16_e32 v27, v37, v27
	s_waitcnt lgkmcnt(0)
	s_barrier
	ds_write_b16 v35, v30
	ds_write_b16 v35, v22 offset:68
	ds_write_b16 v35, v42 offset:136
	;; [unrolled: 1-line block ×6, first 2 shown]
	ds_write_b16 v23, v31
	ds_write_b16 v23, v33 offset:68
	ds_write_b16 v23, v38 offset:136
	;; [unrolled: 1-line block ×6, first 2 shown]
	s_waitcnt lgkmcnt(0)
	s_barrier
	s_and_saveexec_b64 s[10:11], vcc
	s_cbranch_execz .LBB0_17
; %bb.16:
	v_mul_u32_u24_e32 v21, 6, v6
	v_lshlrev_b32_e32 v21, 2, v21
	global_load_dwordx4 v[22:25], v21, s[4:5] offset:884
	global_load_dwordx2 v[30:31], v21, s[4:5] offset:900
	v_mul_u32_u24_e32 v26, 6, v0
	v_lshlrev_b32_e32 v44, 2, v26
	ds_read_u16 v21, v1 offset:1190
	ds_read_u16 v32, v5
	ds_read_u16 v33, v4
	ds_read_u16 v34, v1 offset:3094
	ds_read_u16 v35, v1 offset:2856
	;; [unrolled: 1-line block ×10, first 2 shown]
	ds_read_u16 v1, v1
	global_load_dwordx4 v[26:29], v44, s[4:5] offset:884
	global_load_dwordx2 v[4:5], v44, s[4:5] offset:900
	s_waitcnt vmcnt(3)
	v_lshrrev_b32_e32 v44, 16, v22
	v_lshrrev_b32_e32 v45, 16, v23
	;; [unrolled: 1-line block ×4, first 2 shown]
	v_mul_f16_e32 v48, v15, v22
	s_waitcnt vmcnt(2)
	v_lshrrev_b32_e32 v49, 16, v30
	v_lshrrev_b32_e32 v50, 16, v31
	v_mul_f16_e32 v51, v20, v31
	v_mul_f16_e32 v54, v17, v23
	;; [unrolled: 1-line block ×5, first 2 shown]
	s_waitcnt lgkmcnt(2)
	v_fma_f16 v48, v42, v44, v48
	v_fma_f16 v51, v34, v50, v51
	;; [unrolled: 1-line block ×4, first 2 shown]
	v_mul_f16_e32 v20, v20, v50
	v_mul_f16_e32 v15, v15, v44
	;; [unrolled: 1-line block ×6, first 2 shown]
	v_fma_f16 v52, v36, v47, v52
	v_fma_f16 v53, v38, v46, v53
	v_fma_f16 v20, v34, v31, -v20
	v_fma_f16 v15, v42, v22, -v15
	;; [unrolled: 1-line block ×6, first 2 shown]
	v_add_f16_e32 v21, v48, v51
	v_add_f16_e32 v23, v54, v55
	;; [unrolled: 1-line block ×7, first 2 shown]
	v_sub_f16_e32 v15, v15, v20
	v_sub_f16_e32 v16, v16, v18
	;; [unrolled: 1-line block ×8, first 2 shown]
	v_add_f16_e32 v22, v22, v42
	v_sub_f16_e32 v42, v15, v16
	v_sub_f16_e32 v19, v16, v17
	v_add_f16_e32 v16, v16, v17
	v_sub_f16_e32 v24, v44, v45
	v_sub_f16_e32 v25, v45, v46
	v_add_f16_e32 v30, v45, v46
	v_add_f16_e32 v45, v31, v36
	;; [unrolled: 1-line block ×3, first 2 shown]
	v_sub_f16_e32 v15, v17, v15
	v_mul_f16_e32 v18, 0x3846, v25
	v_add_f16_e32 v20, v44, v30
	v_sub_f16_e32 v25, v31, v34
	v_sub_f16_e32 v30, v34, v36
	v_add_f16_e32 v34, v34, v45
	v_mul_f16_e32 v19, 0x3846, v19
	v_sub_f16_e32 v44, v46, v44
	v_mul_f16_e32 v17, 0xbb00, v15
	v_mul_f16_e32 v47, 0x3a52, v38
	;; [unrolled: 1-line block ×4, first 2 shown]
	v_add_f16_e32 v14, v14, v22
	s_waitcnt lgkmcnt(1)
	v_add_f16_e32 v43, v43, v34
	v_fma_f16 v50, v42, s9, v19
	v_mul_f16_e32 v46, 0xbb00, v44
	v_sub_f16_e32 v31, v36, v31
	v_sub_f16_e32 v21, v23, v21
	v_fma_f16 v17, v42, s3, -v17
	v_fma_f16 v15, v15, s0, -v19
	v_fma_f16 v48, v24, s9, v18
	v_mul_f16_e32 v30, 0x2b26, v30
	v_fma_f16 v22, v22, s8, v14
	v_fma_f16 v34, v34, s8, v43
	;; [unrolled: 1-line block ×3, first 2 shown]
	v_fma_f16 v24, v24, s3, -v46
	v_fma_f16 v36, v31, s2, -v49
	;; [unrolled: 1-line block ×3, first 2 shown]
	v_fma_f16 v17, v16, s6, v17
	v_fma_f16 v15, v16, s6, v15
	v_fma_f16 v16, v21, s1, -v40
	v_fma_f16 v38, v38, s7, v40
	v_fma_f16 v25, v25, s7, v30
	;; [unrolled: 1-line block ×3, first 2 shown]
	v_add_f16_e32 v36, v36, v34
	v_add_f16_e32 v23, v23, v22
	v_fma_f16 v30, v31, s1, -v30
	v_fma_f16 v18, v44, s0, -v18
	v_add_f16_e32 v16, v16, v22
	v_fma_f16 v45, v20, s6, v48
	v_add_f16_e32 v38, v38, v22
	v_add_f16_e32 v25, v25, v34
	;; [unrolled: 1-line block ×3, first 2 shown]
	v_sub_f16_e32 v42, v23, v17
	v_add_f16_e32 v30, v30, v34
	v_fma_f16 v18, v20, s6, v18
	v_add_f16_e32 v19, v15, v16
	v_sub_f16_e32 v15, v16, v15
	v_sub_f16_e32 v16, v36, v24
	v_add_f16_e32 v17, v17, v23
	s_waitcnt vmcnt(1)
	v_lshrrev_b32_e32 v23, 16, v26
	v_lshrrev_b32_e32 v24, 16, v27
	s_waitcnt vmcnt(0)
	v_lshrrev_b32_e32 v34, 16, v4
	v_lshrrev_b32_e32 v36, 16, v5
	v_add_f16_e32 v48, v45, v25
	v_sub_f16_e32 v51, v38, v50
	v_sub_f16_e32 v20, v30, v18
	v_add_f16_e32 v18, v18, v30
	v_sub_f16_e32 v21, v25, v45
	v_add_f16_e32 v22, v50, v38
	v_lshrrev_b32_e32 v25, 16, v28
	v_lshrrev_b32_e32 v30, 16, v29
	v_mul_f16_e32 v31, v12, v26
	v_mul_f16_e32 v38, v13, v5
	;; [unrolled: 1-line block ×10, first 2 shown]
	v_fma_f16 v5, v35, v5, -v13
	v_fma_f16 v12, v32, v26, -v12
	v_mul_f16_e32 v11, v11, v25
	v_mul_f16_e32 v10, v10, v30
	v_fma_f16 v4, v41, v4, -v9
	v_fma_f16 v8, v33, v27, -v8
	v_add_f16_e32 v13, v12, v5
	v_fma_f16 v11, v39, v28, -v11
	v_fma_f16 v10, v37, v29, -v10
	v_add_f16_e32 v9, v8, v4
	v_fma_f16 v31, v32, v23, v31
	v_fma_f16 v38, v35, v36, v38
	v_fma_f16 v44, v37, v30, v44
	v_fma_f16 v45, v39, v25, v45
	v_fma_f16 v50, v33, v24, v50
	v_fma_f16 v52, v41, v34, v52
	v_add_f16_e32 v23, v10, v11
	v_add_f16_e32 v27, v13, v9
	v_sub_f16_e32 v47, v44, v45
	v_sub_f16_e32 v53, v50, v52
	v_sub_f16_e32 v25, v13, v23
	v_sub_f16_e32 v24, v23, v9
	v_add_f16_e32 v23, v23, v27
	v_add_f16_e32 v28, v31, v38
	;; [unrolled: 1-line block ×3, first 2 shown]
	v_sub_f16_e32 v40, v31, v38
	v_sub_f16_e32 v54, v47, v53
	v_mul_f16_e32 v26, 0x3a52, v25
	v_mul_f16_e32 v24, 0x2b26, v24
	s_waitcnt lgkmcnt(0)
	v_add_f16_e32 v27, v1, v23
	v_add_f16_e32 v29, v44, v45
	;; [unrolled: 1-line block ×3, first 2 shown]
	v_sub_f16_e32 v10, v10, v11
	v_sub_f16_e32 v4, v8, v4
	;; [unrolled: 1-line block ×4, first 2 shown]
	v_mul_f16_e32 v54, 0x3846, v54
	v_add_f16_e32 v47, v47, v53
	v_fma_f16 v25, v25, s7, v24
	v_fma_f16 v1, v23, s8, v27
	v_sub_f16_e32 v30, v28, v29
	v_sub_f16_e32 v33, v29, v32
	v_add_f16_e32 v29, v29, v34
	v_sub_f16_e32 v5, v12, v5
	v_sub_f16_e32 v8, v10, v4
	;; [unrolled: 1-line block ×3, first 2 shown]
	v_fma_f16 v13, v9, s2, -v26
	v_fma_f16 v9, v9, s1, -v24
	v_add_f16_e32 v47, v40, v47
	v_add_f16_e32 v23, v25, v1
	v_mul_f16_e32 v33, 0x2b26, v33
	v_add_f16_e32 v7, v7, v29
	v_sub_f16_e32 v11, v5, v10
	v_mul_f16_e32 v8, 0x3846, v8
	v_add_f16_e32 v10, v10, v4
	v_mul_f16_e32 v36, 0xbb00, v35
	v_add_f16_e32 v13, v13, v1
	v_sub_f16_e32 v28, v32, v28
	v_sub_f16_e32 v4, v4, v5
	v_add_f16_e32 v1, v9, v1
	v_fma_f16 v9, v35, s0, -v54
	v_fma_f16 v55, v49, s9, v54
	v_mul_f16_e32 v31, 0x3a52, v30
	v_fma_f16 v30, v30, s7, v33
	v_fma_f16 v29, v29, s8, v7
	;; [unrolled: 1-line block ×3, first 2 shown]
	v_add_f16_e32 v10, v5, v10
	v_fma_f16 v36, v49, s3, -v36
	v_mul_f16_e32 v5, 0xbb00, v4
	v_fma_f16 v9, v47, s6, v9
	v_fma_f16 v4, v4, s0, -v8
	v_fma_f16 v8, v28, s1, -v33
	v_fma_f16 v55, v47, s6, v55
	v_add_f16_e32 v30, v30, v29
	v_fma_f16 v12, v10, s6, v12
	v_fma_f16 v36, v47, s6, v36
	v_fma_f16 v31, v28, s2, -v31
	v_fma_f16 v5, v11, s3, -v5
	v_sub_f16_e32 v24, v1, v9
	v_fma_f16 v4, v10, s6, v4
	v_add_f16_e32 v8, v8, v29
	v_add_f16_e32 v9, v9, v1
	v_mov_b32_e32 v1, 0
	v_sub_f16_e32 v34, v30, v12
	v_add_f16_e32 v26, v36, v13
	v_add_f16_e32 v31, v31, v29
	v_fma_f16 v5, v10, s6, v5
	v_add_f16_e32 v10, v4, v8
	v_sub_f16_e32 v4, v8, v4
	v_sub_f16_e32 v8, v13, v36
	;; [unrolled: 1-line block ×3, first 2 shown]
	v_add_f16_e32 v12, v12, v30
	v_lshl_add_u64 v[2:3], v[0:1], 2, v[2:3]
	v_pack_b32_f16 v0, v7, v27
	v_sub_f16_e32 v11, v31, v5
	v_add_f16_e32 v5, v5, v31
	global_store_dword v[2:3], v0, off
	v_pack_b32_f16 v0, v12, v13
	global_store_dword v[2:3], v0, off offset:952
	v_pack_b32_f16 v0, v5, v8
	global_store_dword v[2:3], v0, off offset:1904
	v_pack_b32_f16 v0, v4, v9
	s_movk_i32 s0, 0x1000
	global_store_dword v[2:3], v0, off offset:2856
	v_pack_b32_f16 v0, v10, v24
	v_add_co_u32_e32 v4, vcc, s0, v2
	v_add_f16_e32 v25, v55, v23
	global_store_dword v[2:3], v0, off offset:3808
	v_pack_b32_f16 v0, v11, v26
	v_addc_co_u32_e32 v5, vcc, 0, v3, vcc
	global_store_dword v[4:5], v0, off offset:664
	v_pack_b32_f16 v0, v34, v25
	s_mov_b32 s0, 0x44d72045
	global_store_dword v[4:5], v0, off offset:1616
	v_mul_hi_u32 v0, v6, s0
	v_lshrrev_b32_e32 v0, 6, v0
	v_mul_u32_u24_e32 v0, 0x594, v0
	v_lshl_add_u64 v[0:1], v[0:1], 2, v[2:3]
	v_pack_b32_f16 v4, v14, v43
	global_store_dword v[0:1], v4, off offset:476
	v_pack_b32_f16 v4, v22, v21
	global_store_dword v[0:1], v4, off offset:1428
	v_pack_b32_f16 v4, v17, v16
	s_mov_b64 s[0:1], 0x1dc
	global_store_dword v[0:1], v4, off offset:2380
	v_pack_b32_f16 v4, v15, v18
	v_lshl_add_u64 v[2:3], v[0:1], 0, s[0:1]
	global_store_dword v[0:1], v4, off offset:3332
	v_pack_b32_f16 v4, v19, v20
	v_add_co_u32_e32 v0, vcc, 0x1000, v0
	global_store_dword v[2:3], v4, off offset:3808
	v_pack_b32_f16 v2, v42, v46
	v_addc_co_u32_e32 v1, vcc, 0, v1, vcc
	global_store_dword v[0:1], v2, off offset:1140
	v_pack_b32_f16 v2, v51, v48
	global_store_dword v[0:1], v2, off offset:2092
.LBB0_17:
	s_endpgm
	.section	.rodata,"a",@progbits
	.p2align	6, 0x0
	.amdhsa_kernel fft_rtc_back_len1666_factors_17_2_7_7_wgs_119_tpt_119_halfLds_half_ip_CI_unitstride_sbrr_dirReg
		.amdhsa_group_segment_fixed_size 0
		.amdhsa_private_segment_fixed_size 0
		.amdhsa_kernarg_size 88
		.amdhsa_user_sgpr_count 2
		.amdhsa_user_sgpr_dispatch_ptr 0
		.amdhsa_user_sgpr_queue_ptr 0
		.amdhsa_user_sgpr_kernarg_segment_ptr 1
		.amdhsa_user_sgpr_dispatch_id 0
		.amdhsa_user_sgpr_kernarg_preload_length 0
		.amdhsa_user_sgpr_kernarg_preload_offset 0
		.amdhsa_user_sgpr_private_segment_size 0
		.amdhsa_uses_dynamic_stack 0
		.amdhsa_enable_private_segment 0
		.amdhsa_system_sgpr_workgroup_id_x 1
		.amdhsa_system_sgpr_workgroup_id_y 0
		.amdhsa_system_sgpr_workgroup_id_z 0
		.amdhsa_system_sgpr_workgroup_info 0
		.amdhsa_system_vgpr_workitem_id 0
		.amdhsa_next_free_vgpr 98
		.amdhsa_next_free_sgpr 29
		.amdhsa_accum_offset 100
		.amdhsa_reserve_vcc 1
		.amdhsa_float_round_mode_32 0
		.amdhsa_float_round_mode_16_64 0
		.amdhsa_float_denorm_mode_32 3
		.amdhsa_float_denorm_mode_16_64 3
		.amdhsa_dx10_clamp 1
		.amdhsa_ieee_mode 1
		.amdhsa_fp16_overflow 0
		.amdhsa_tg_split 0
		.amdhsa_exception_fp_ieee_invalid_op 0
		.amdhsa_exception_fp_denorm_src 0
		.amdhsa_exception_fp_ieee_div_zero 0
		.amdhsa_exception_fp_ieee_overflow 0
		.amdhsa_exception_fp_ieee_underflow 0
		.amdhsa_exception_fp_ieee_inexact 0
		.amdhsa_exception_int_div_zero 0
	.end_amdhsa_kernel
	.text
.Lfunc_end0:
	.size	fft_rtc_back_len1666_factors_17_2_7_7_wgs_119_tpt_119_halfLds_half_ip_CI_unitstride_sbrr_dirReg, .Lfunc_end0-fft_rtc_back_len1666_factors_17_2_7_7_wgs_119_tpt_119_halfLds_half_ip_CI_unitstride_sbrr_dirReg
                                        ; -- End function
	.section	.AMDGPU.csdata,"",@progbits
; Kernel info:
; codeLenInByte = 12360
; NumSgprs: 35
; NumVgprs: 98
; NumAgprs: 0
; TotalNumVgprs: 98
; ScratchSize: 0
; MemoryBound: 0
; FloatMode: 240
; IeeeMode: 1
; LDSByteSize: 0 bytes/workgroup (compile time only)
; SGPRBlocks: 4
; VGPRBlocks: 12
; NumSGPRsForWavesPerEU: 35
; NumVGPRsForWavesPerEU: 98
; AccumOffset: 100
; Occupancy: 4
; WaveLimiterHint : 1
; COMPUTE_PGM_RSRC2:SCRATCH_EN: 0
; COMPUTE_PGM_RSRC2:USER_SGPR: 2
; COMPUTE_PGM_RSRC2:TRAP_HANDLER: 0
; COMPUTE_PGM_RSRC2:TGID_X_EN: 1
; COMPUTE_PGM_RSRC2:TGID_Y_EN: 0
; COMPUTE_PGM_RSRC2:TGID_Z_EN: 0
; COMPUTE_PGM_RSRC2:TIDIG_COMP_CNT: 0
; COMPUTE_PGM_RSRC3_GFX90A:ACCUM_OFFSET: 24
; COMPUTE_PGM_RSRC3_GFX90A:TG_SPLIT: 0
	.text
	.p2alignl 6, 3212836864
	.fill 256, 4, 3212836864
	.type	__hip_cuid_abd59057bbe98843,@object ; @__hip_cuid_abd59057bbe98843
	.section	.bss,"aw",@nobits
	.globl	__hip_cuid_abd59057bbe98843
__hip_cuid_abd59057bbe98843:
	.byte	0                               ; 0x0
	.size	__hip_cuid_abd59057bbe98843, 1

	.ident	"AMD clang version 19.0.0git (https://github.com/RadeonOpenCompute/llvm-project roc-6.4.0 25133 c7fe45cf4b819c5991fe208aaa96edf142730f1d)"
	.section	".note.GNU-stack","",@progbits
	.addrsig
	.addrsig_sym __hip_cuid_abd59057bbe98843
	.amdgpu_metadata
---
amdhsa.kernels:
  - .agpr_count:     0
    .args:
      - .actual_access:  read_only
        .address_space:  global
        .offset:         0
        .size:           8
        .value_kind:     global_buffer
      - .offset:         8
        .size:           8
        .value_kind:     by_value
      - .actual_access:  read_only
        .address_space:  global
        .offset:         16
        .size:           8
        .value_kind:     global_buffer
      - .actual_access:  read_only
        .address_space:  global
        .offset:         24
        .size:           8
        .value_kind:     global_buffer
      - .offset:         32
        .size:           8
        .value_kind:     by_value
      - .actual_access:  read_only
        .address_space:  global
        .offset:         40
        .size:           8
        .value_kind:     global_buffer
      - .actual_access:  read_only
        .address_space:  global
        .offset:         48
        .size:           8
        .value_kind:     global_buffer
      - .offset:         56
        .size:           4
        .value_kind:     by_value
      - .actual_access:  read_only
        .address_space:  global
        .offset:         64
        .size:           8
        .value_kind:     global_buffer
      - .actual_access:  read_only
        .address_space:  global
        .offset:         72
        .size:           8
        .value_kind:     global_buffer
      - .address_space:  global
        .offset:         80
        .size:           8
        .value_kind:     global_buffer
    .group_segment_fixed_size: 0
    .kernarg_segment_align: 8
    .kernarg_segment_size: 88
    .language:       OpenCL C
    .language_version:
      - 2
      - 0
    .max_flat_workgroup_size: 119
    .name:           fft_rtc_back_len1666_factors_17_2_7_7_wgs_119_tpt_119_halfLds_half_ip_CI_unitstride_sbrr_dirReg
    .private_segment_fixed_size: 0
    .sgpr_count:     35
    .sgpr_spill_count: 0
    .symbol:         fft_rtc_back_len1666_factors_17_2_7_7_wgs_119_tpt_119_halfLds_half_ip_CI_unitstride_sbrr_dirReg.kd
    .uniform_work_group_size: 1
    .uses_dynamic_stack: false
    .vgpr_count:     98
    .vgpr_spill_count: 0
    .wavefront_size: 64
amdhsa.target:   amdgcn-amd-amdhsa--gfx950
amdhsa.version:
  - 1
  - 2
...

	.end_amdgpu_metadata
